;; amdgpu-corpus repo=ROCm/rocFFT kind=compiled arch=gfx950 opt=O3
	.text
	.amdgcn_target "amdgcn-amd-amdhsa--gfx950"
	.amdhsa_code_object_version 6
	.protected	bluestein_single_back_len2250_dim1_sp_op_CI_CI ; -- Begin function bluestein_single_back_len2250_dim1_sp_op_CI_CI
	.globl	bluestein_single_back_len2250_dim1_sp_op_CI_CI
	.p2align	8
	.type	bluestein_single_back_len2250_dim1_sp_op_CI_CI,@function
bluestein_single_back_len2250_dim1_sp_op_CI_CI: ; @bluestein_single_back_len2250_dim1_sp_op_CI_CI
; %bb.0:
	s_load_dwordx4 s[8:11], s[0:1], 0x28
	v_mul_u32_u24_e32 v1, 0x2d9, v0
	v_mov_b32_e32 v119, 0
	v_add_u32_sdwa v6, s2, v1 dst_sel:DWORD dst_unused:UNUSED_PAD src0_sel:DWORD src1_sel:WORD_1
	v_mov_b32_e32 v7, v119
	s_waitcnt lgkmcnt(0)
	v_cmp_gt_u64_e32 vcc, s[8:9], v[6:7]
	s_and_saveexec_b64 s[2:3], vcc
	s_cbranch_execz .LBB0_31
; %bb.1:
	s_load_dwordx4 s[4:7], s[0:1], 0x18
	s_load_dwordx2 s[14:15], s[0:1], 0x0
	v_mov_b32_e32 v2, s10
	v_mov_b32_e32 v3, s11
	s_movk_i32 s2, 0x5a
	s_waitcnt lgkmcnt(0)
	s_load_dwordx4 s[8:11], s[4:5], 0x0
	v_mul_lo_u16_sdwa v1, v1, s2 dst_sel:DWORD dst_unused:UNUSED_PAD src0_sel:WORD_1 src1_sel:DWORD
	v_sub_u16_e32 v118, v0, v1
	v_accvgpr_write_b32 a44, v6
	v_lshlrev_b32_e32 v218, 3, v118
	s_waitcnt lgkmcnt(0)
	v_mad_u64_u32 v[0:1], s[2:3], s10, v6, 0
	v_mov_b32_e32 v4, v1
	v_mad_u64_u32 v[4:5], s[2:3], s11, v6, v[4:5]
	v_mov_b32_e32 v1, v4
	v_mad_u64_u32 v[4:5], s[2:3], s8, v118, 0
	v_mov_b32_e32 v6, v5
	v_mad_u64_u32 v[6:7], s[2:3], s9, v118, v[6:7]
	v_mov_b32_e32 v5, v6
	v_lshl_add_u64 v[0:1], v[0:1], 3, v[2:3]
	v_lshl_add_u64 v[0:1], v[4:5], 3, v[0:1]
	global_load_dwordx2 v[36:37], v218, s[14:15]
	global_load_dwordx2 v[6:7], v[0:1], off
	s_mul_i32 s2, s9, 0xe1
	s_mul_hi_u32 s3, s8, 0xe1
	s_add_i32 s3, s3, s2
	s_mul_i32 s2, s8, 0xe1
	s_lshl_b64 s[2:3], s[2:3], 3
	v_lshl_add_u64 v[0:1], v[0:1], 0, s[2:3]
	global_load_dwordx2 v[42:43], v218, s[14:15] offset:1800
	global_load_dwordx2 v[4:5], v[0:1], off
	v_lshl_add_u64 v[8:9], v[0:1], 0, s[2:3]
	global_load_dwordx2 v[44:45], v218, s[14:15] offset:3600
	global_load_dwordx2 v[2:3], v[8:9], off
	v_mov_b32_e32 v219, v119
	s_movk_i32 s4, 0x1000
	v_lshl_add_u64 v[34:35], s[14:15], 0, v[218:219]
	v_add_co_u32_e32 v0, vcc, s4, v34
	v_lshl_add_u64 v[8:9], v[8:9], 0, s[2:3]
	s_nop 0
	v_addc_co_u32_e32 v1, vcc, 0, v35, vcc
	global_load_dwordx2 v[62:63], v[0:1], off offset:1304
	global_load_dwordx2 v[12:13], v[8:9], off
	v_lshl_add_u64 v[10:11], v[8:9], 0, s[2:3]
	s_movk_i32 s5, 0x2000
	global_load_dwordx2 v[64:65], v218, s[14:15] offset:720
	global_load_dwordx2 v[54:55], v218, s[14:15] offset:2520
	global_load_dwordx2 v[78:79], v[0:1], off offset:3104
	global_load_dwordx2 v[14:15], v[10:11], off
	v_add_co_u32_e32 v8, vcc, s5, v34
	v_lshl_add_u64 v[10:11], v[10:11], 0, s[2:3]
	s_nop 0
	v_addc_co_u32_e32 v9, vcc, 0, v35, vcc
	global_load_dwordx2 v[76:77], v[8:9], off offset:808
	global_load_dwordx2 v[74:75], v[8:9], off offset:2608
	global_load_dwordx2 v[16:17], v[10:11], off
	s_movk_i32 s10, 0x3000
	v_lshl_add_u64 v[18:19], v[10:11], 0, s[2:3]
	global_load_dwordx2 v[20:21], v[18:19], off
	v_add_co_u32_e32 v10, vcc, s10, v34
	v_lshl_add_u64 v[18:19], v[18:19], 0, s[2:3]
	s_nop 0
	v_addc_co_u32_e32 v11, vcc, 0, v35, vcc
	global_load_dwordx2 v[72:73], v[10:11], off offset:312
	global_load_dwordx2 v[22:23], v[18:19], off
	v_lshl_add_u64 v[18:19], v[18:19], 0, s[2:3]
	s_movk_i32 s4, 0x4000
	global_load_dwordx2 v[70:71], v[10:11], off offset:2112
	global_load_dwordx2 v[68:69], v[10:11], off offset:3912
	global_load_dwordx2 v[26:27], v[18:19], off
	global_load_dwordx2 v[56:57], v[0:1], off offset:2024
	s_mul_hi_u32 s5, s8, 0xfffff871
	v_lshl_add_u64 v[18:19], v[18:19], 0, s[2:3]
	v_add_co_u32_e32 v24, vcc, s4, v34
	s_mul_i32 s4, s9, 0xfffff871
	global_load_dwordx2 v[28:29], v[18:19], off
	s_sub_i32 s5, s5, s8
	s_mul_i32 s16, s8, 0xfffff871
	s_add_i32 s17, s5, s4
	v_lshl_add_u64 v[18:19], s[16:17], 3, v[18:19]
	global_load_dwordx2 v[30:31], v[18:19], off
	global_load_dwordx2 v[66:67], v[0:1], off offset:224
	v_lshl_add_u64 v[18:19], v[18:19], 0, s[2:3]
	global_load_dwordx2 v[32:33], v[18:19], off
	v_accvgpr_write_b32 a0, v34
	v_accvgpr_write_b32 a1, v35
	v_addc_co_u32_e32 v25, vcc, 0, v35, vcc
	v_lshl_add_u64 v[18:19], v[18:19], 0, s[2:3]
	global_load_dwordx2 v[46:47], v[24:25], off offset:536
	s_waitcnt vmcnt(26)
	v_accvgpr_write_b32 a14, v36
	s_waitcnt vmcnt(25)
	v_mul_f32_e32 v34, v7, v37
	global_load_dwordx2 v[24:25], v[18:19], off
	v_fmac_f32_e32 v34, v6, v36
	v_mul_f32_e32 v6, v6, v37
	v_fma_f32 v35, v7, v36, -v6
	v_lshl_add_u64 v[6:7], v[18:19], 0, s[2:3]
	global_load_dwordx2 v[18:19], v[6:7], off
	v_lshl_add_u64 v[6:7], v[6:7], 0, s[2:3]
	global_load_dwordx2 v[38:39], v[6:7], off
	global_load_dwordx2 v[60:61], v[0:1], off offset:3824
	v_accvgpr_write_b32 a15, v37
	s_waitcnt vmcnt(27)
	v_mul_f32_e32 v36, v5, v43
	v_lshl_add_u64 v[6:7], v[6:7], 0, s[2:3]
	v_fmac_f32_e32 v36, v4, v42
	v_mul_f32_e32 v4, v4, v43
	global_load_dwordx2 v[40:41], v[6:7], off
	global_load_dwordx2 v[52:53], v[8:9], off offset:3328
	global_load_dwordx2 v[58:59], v[8:9], off offset:1528
	v_fma_f32 v37, v5, v42, -v4
	v_lshl_add_u64 v[6:7], v[6:7], 0, s[2:3]
	ds_write_b64 v218, v[36:37] offset:1800
	global_load_dwordx2 v[36:37], v[6:7], off
	v_accvgpr_write_b32 a10, v42
	v_lshl_add_u64 v[6:7], v[6:7], 0, s[2:3]
	v_accvgpr_write_b32 a11, v43
	s_waitcnt vmcnt(29)
	v_mul_f32_e32 v4, v3, v45
	v_mul_f32_e32 v5, v2, v45
	global_load_dwordx2 v[42:43], v[6:7], off
	global_load_dwordx2 v[48:49], v[10:11], off offset:2832
	global_load_dwordx2 v[50:51], v[10:11], off offset:1032
	v_fma_f32 v5, v3, v44, -v5
	v_fmac_f32_e32 v4, v2, v44
	v_lshl_add_u64 v[2:3], v[6:7], 0, s[2:3]
	ds_write_b64 v218, v[4:5] offset:3600
	global_load_dwordx2 v[4:5], v[2:3], off
	v_accvgpr_write_b32 a6, v44
	v_lshl_add_u64 v[2:3], v[2:3], 0, s[2:3]
	v_accvgpr_write_b32 a7, v45
	global_load_dwordx2 v[44:45], v[2:3], off
	s_waitcnt vmcnt(32)
	v_mul_f32_e32 v6, v12, v63
	v_fma_f32 v7, v13, v62, -v6
	v_mul_f32_e32 v6, v13, v63
	v_fmac_f32_e32 v6, v12, v62
	s_load_dwordx2 s[12:13], s[0:1], 0x38
	s_load_dwordx4 s[8:11], s[6:7], 0x0
	ds_write_b64 v218, v[6:7] offset:5400
	s_waitcnt vmcnt(28)
	v_mul_f32_e32 v6, v14, v79
	v_fma_f32 v7, v15, v78, -v6
	v_mul_f32_e32 v6, v15, v79
	v_fmac_f32_e32 v6, v14, v78
	ds_write_b64 v218, v[6:7] offset:7200
	s_waitcnt vmcnt(25)
	v_mul_f32_e32 v6, v17, v77
	v_mul_f32_e32 v7, v16, v77
	v_fmac_f32_e32 v6, v16, v76
	v_fma_f32 v7, v17, v76, -v7
	ds_write_b64 v218, v[6:7] offset:9000
	s_waitcnt vmcnt(24)
	v_mul_f32_e32 v6, v21, v75
	v_mul_f32_e32 v7, v20, v75
	v_fmac_f32_e32 v6, v20, v74
	v_fma_f32 v7, v21, v74, -v7
	;; [unrolled: 6-line block ×6, first 2 shown]
	ds_write2_b64 v218, v[34:35], v[6:7] offset1:90
	s_waitcnt vmcnt(14)
	v_mul_f32_e32 v6, v33, v55
	v_mul_f32_e32 v7, v32, v55
	v_fmac_f32_e32 v6, v32, v54
	v_fma_f32 v7, v33, v54, -v7
	ds_write_b64 v218, v[6:7] offset:2520
	v_accvgpr_write_b32 a26, v62
	s_waitcnt vmcnt(12)
	v_mul_f32_e32 v6, v25, v67
	v_mul_f32_e32 v7, v24, v67
	v_fmac_f32_e32 v6, v24, v66
	v_fma_f32 v7, v25, v66, -v7
	ds_write_b64 v218, v[6:7] offset:4320
	s_waitcnt vmcnt(11)
	v_mul_f32_e32 v6, v19, v57
	v_mul_f32_e32 v7, v18, v57
	v_fmac_f32_e32 v6, v18, v56
	v_fma_f32 v7, v19, v56, -v7
	ds_write_b64 v218, v[6:7] offset:6120
	;; [unrolled: 6-line block ×6, first 2 shown]
	s_waitcnt vmcnt(1)
	v_mul_f32_e32 v6, v5, v49
	v_fmac_f32_e32 v6, v4, v48
	v_mul_f32_e32 v4, v4, v49
	v_accvgpr_write_b32 a42, v78
	v_accvgpr_write_b32 a40, v76
	;; [unrolled: 1-line block ×15, first 2 shown]
	v_fma_f32 v7, v5, v48, -v4
	s_waitcnt vmcnt(0)
	v_mul_f32_e32 v4, v45, v47
	v_mul_f32_e32 v5, v44, v47
	v_accvgpr_write_b32 a2, v46
	v_accvgpr_write_b32 a27, v63
	;; [unrolled: 1-line block ×17, first 2 shown]
	v_fmac_f32_e32 v4, v44, v46
	v_accvgpr_write_b32 a3, v47
	v_fma_f32 v5, v45, v46, -v5
	v_cmp_gt_u16_e64 s[6:7], 45, v118
	ds_write_b64 v218, v[6:7] offset:15120
	ds_write_b64 v218, v[4:5] offset:16920
	s_and_saveexec_b64 s[4:5], s[6:7]
	s_cbranch_execz .LBB0_3
; %bb.2:
	v_accvgpr_read_b32 v41, a1
	v_lshl_add_u64 v[2:3], s[16:17], 3, v[2:3]
	v_accvgpr_read_b32 v40, a0
	global_load_dwordx2 v[4:5], v[2:3], off
	global_load_dwordx2 v[6:7], v[40:41], off offset:1440
	v_lshl_add_u64 v[2:3], v[2:3], 0, s[2:3]
	global_load_dwordx2 v[12:13], v[2:3], off
	global_load_dwordx2 v[14:15], v[40:41], off offset:3240
	v_lshl_add_u64 v[2:3], v[2:3], 0, s[2:3]
	global_load_dwordx2 v[16:17], v[2:3], off
	global_load_dwordx2 v[18:19], v[0:1], off offset:944
	global_load_dwordx2 v[20:21], v[0:1], off offset:2744
	v_lshl_add_u64 v[0:1], v[2:3], 0, s[2:3]
	global_load_dwordx2 v[2:3], v[0:1], off
	v_lshl_add_u64 v[0:1], v[0:1], 0, s[2:3]
	global_load_dwordx2 v[22:23], v[0:1], off
	global_load_dwordx2 v[24:25], v[8:9], off offset:448
	v_lshl_add_u64 v[0:1], v[0:1], 0, s[2:3]
	global_load_dwordx2 v[26:27], v[0:1], off
	global_load_dwordx2 v[28:29], v[8:9], off offset:2248
	;; [unrolled: 3-line block ×3, first 2 shown]
	global_load_dwordx2 v[34:35], v[10:11], off offset:1752
	global_load_dwordx2 v[36:37], v[10:11], off offset:3552
	v_lshl_add_u64 v[0:1], v[0:1], 0, s[2:3]
	global_load_dwordx2 v[8:9], v[0:1], off
	v_add_co_u32_e32 v10, vcc, 0x4000, v40
	v_lshl_add_u64 v[0:1], v[0:1], 0, s[2:3]
	global_load_dwordx2 v[38:39], v[0:1], off
	v_addc_co_u32_e32 v11, vcc, 0, v41, vcc
	v_lshl_add_u64 v[0:1], v[0:1], 0, s[2:3]
	global_load_dwordx2 v[10:11], v[10:11], off offset:1256
	v_add_u32_e32 v42, 0x500, v218
	global_load_dwordx2 v[0:1], v[0:1], off
	v_add_u32_e32 v43, 0x1300, v218
	v_add_u32_e32 v44, 0x2100, v218
	;; [unrolled: 1-line block ×3, first 2 shown]
	s_waitcnt vmcnt(18)
	v_mul_f32_e32 v40, v5, v7
	v_mul_f32_e32 v7, v4, v7
	v_fmac_f32_e32 v40, v4, v6
	v_fma_f32 v41, v5, v6, -v7
	s_waitcnt vmcnt(16)
	v_mul_f32_e32 v4, v13, v15
	v_mul_f32_e32 v5, v12, v15
	v_fmac_f32_e32 v4, v12, v14
	v_fma_f32 v5, v13, v14, -v5
	s_waitcnt vmcnt(14)
	v_mul_f32_e32 v6, v17, v19
	v_mul_f32_e32 v7, v16, v19
	ds_write2_b64 v42, v[40:41], v[4:5] offset0:20 offset1:245
	s_waitcnt vmcnt(12)
	v_mul_f32_e32 v4, v3, v21
	v_mul_f32_e32 v5, v2, v21
	v_fmac_f32_e32 v6, v16, v18
	v_fma_f32 v7, v17, v18, -v7
	v_fmac_f32_e32 v4, v2, v20
	v_fma_f32 v5, v3, v20, -v5
	s_waitcnt vmcnt(10)
	v_mul_f32_e32 v2, v23, v25
	v_mul_f32_e32 v3, v22, v25
	ds_write2_b64 v43, v[6:7], v[4:5] offset0:22 offset1:247
	s_waitcnt vmcnt(8)
	v_mul_f32_e32 v4, v27, v29
	v_mul_f32_e32 v5, v26, v29
	v_fmac_f32_e32 v2, v22, v24
	v_fma_f32 v3, v23, v24, -v3
	;; [unrolled: 11-line block ×4, first 2 shown]
	v_fmac_f32_e32 v2, v0, v10
	v_fma_f32 v3, v1, v10, -v3
	v_add_u32_e32 v0, 0x3d00, v218
	ds_write2_b64 v0, v[4:5], v[2:3] offset0:28 offset1:253
.LBB0_3:
	s_or_b64 exec, exec, s[4:5]
	v_add_u32_e32 v0, 0x400, v218
	s_waitcnt lgkmcnt(0)
	s_barrier
	ds_read2_b64 v[12:15], v0 offset0:97 offset1:187
	v_add_u32_e32 v0, 0xc00, v218
	ds_read2_b64 v[36:39], v0 offset0:66 offset1:156
	v_add_u32_e32 v0, 0x1000, v218
	;; [unrolled: 2-line block ×8, first 2 shown]
	ds_read2_b64 v[32:35], v218 offset1:90
	ds_read2_b64 v[28:31], v0 offset0:105 offset1:195
                                        ; implicit-def: $vgpr8
                                        ; implicit-def: $vgpr4
                                        ; implicit-def: $vgpr52
                                        ; implicit-def: $vgpr56
                                        ; implicit-def: $vgpr0
                                        ; implicit-def: $vgpr60
                                        ; implicit-def: $vgpr10
                                        ; implicit-def: $vgpr62
                                        ; implicit-def: $vgpr64
                                        ; implicit-def: $vgpr6
	s_and_saveexec_b64 s[2:3], s[6:7]
	s_cbranch_execz .LBB0_5
; %bb.4:
	v_add_u32_e32 v0, 0x500, v218
	v_add_u32_e32 v4, 0x1300, v218
	;; [unrolled: 1-line block ×5, first 2 shown]
	ds_read2_b64 v[0:3], v0 offset0:20 offset1:245
	ds_read2_b64 v[4:7], v4 offset0:22 offset1:247
	;; [unrolled: 1-line block ×5, first 2 shown]
	s_waitcnt lgkmcnt(2)
	v_mov_b32_e32 v60, v11
	v_mov_b32_e32 v61, v10
	;; [unrolled: 1-line block ×4, first 2 shown]
	s_waitcnt lgkmcnt(1)
	v_mov_b32_e32 v62, v55
	v_mov_b32_e32 v63, v54
	s_waitcnt lgkmcnt(0)
	v_mov_b32_e32 v64, v59
	v_mov_b32_e32 v65, v58
	;; [unrolled: 1-line block ×4, first 2 shown]
.LBB0_5:
	s_or_b64 exec, exec, s[2:3]
	v_pk_add_f32 v[58:59], v[4:5], v[56:57] neg_lo:[0,1] neg_hi:[0,1]
	v_pk_add_f32 v[76:77], v[4:5], v[8:9] neg_lo:[0,1] neg_hi:[0,1]
	v_pk_add_f32 v[80:81], v[4:5], v[56:57]
	v_pk_add_f32 v[82:83], v[8:9], v[4:5] neg_lo:[0,1] neg_hi:[0,1]
	v_pk_add_f32 v[4:5], v[0:1], v[4:5]
	v_pk_add_f32 v[2:3], v[8:9], v[52:53]
	;; [unrolled: 1-line block ×3, first 2 shown]
	v_pk_add_f32 v[66:67], v[8:9], v[52:53] neg_lo:[0,1] neg_hi:[0,1]
	v_pk_add_f32 v[4:5], v[4:5], v[52:53]
	v_pk_add_f32 v[78:79], v[56:57], v[52:53] neg_lo:[0,1] neg_hi:[0,1]
	v_pk_add_f32 v[84:85], v[52:53], v[56:57] neg_lo:[0,1] neg_hi:[0,1]
	v_pk_add_f32 v[52:53], v[4:5], v[56:57]
	v_pk_add_f32 v[4:5], v[6:7], v[10:11]
	v_pk_fma_f32 v[2:3], v[2:3], 0.5, v[0:1] op_sel_hi:[1,0,1] neg_lo:[1,0,0] neg_hi:[1,0,0]
	v_pk_add_f32 v[4:5], v[4:5], v[60:61]
	s_mov_b32 s16, 0x3f737871
	v_pk_add_f32 v[4:5], v[4:5], v[62:63]
	s_mov_b32 s4, 0x3f167918
	v_pk_fma_f32 v[0:1], v[80:81], 0.5, v[0:1] op_sel_hi:[1,0,1] neg_lo:[1,0,0] neg_hi:[1,0,0]
	v_pk_add_f32 v[86:87], v[10:11], v[64:65] neg_lo:[0,1] neg_hi:[0,1]
	v_pk_add_f32 v[54:55], v[4:5], v[64:65]
	v_pk_add_f32 v[4:5], v[60:61], v[62:63]
	s_mov_b32 s5, 0xbf167918
	v_pk_fma_f32 v[56:57], v[66:67], s[16:17], v[0:1] op_sel:[1,0,0] op_sel_hi:[0,0,1]
	v_pk_fma_f32 v[0:1], v[66:67], s[16:17], v[0:1] op_sel:[1,0,0] op_sel_hi:[0,0,1] neg_lo:[1,0,0] neg_hi:[1,0,0]
	s_mov_b64 s[2:3], 0x5a
	v_pk_add_f32 v[88:89], v[60:61], v[62:63] neg_lo:[0,1] neg_hi:[0,1]
	v_pk_add_f32 v[92:93], v[64:65], v[62:63] neg_lo:[0,1] neg_hi:[0,1]
	;; [unrolled: 1-line block ×3, first 2 shown]
	v_pk_add_f32 v[8:9], v[10:11], v[64:65]
	v_pk_fma_f32 v[64:65], v[58:59], s[4:5], v[56:57] op_sel:[1,0,0] op_sel_hi:[0,0,1] neg_lo:[1,0,0] neg_hi:[1,0,0]
	v_pk_fma_f32 v[56:57], v[58:59], s[16:17], v[2:3] op_sel:[1,0,0] op_sel_hi:[0,0,1] neg_lo:[1,0,0] neg_hi:[1,0,0]
	v_pk_fma_f32 v[2:3], v[58:59], s[16:17], v[2:3] op_sel:[1,0,0] op_sel_hi:[0,0,1]
	v_pk_fma_f32 v[0:1], v[58:59], s[4:5], v[0:1] op_sel:[1,0,0] op_sel_hi:[0,0,1]
	v_pk_fma_f32 v[4:5], v[4:5], 0.5, v[6:7] op_sel_hi:[1,0,1] neg_lo:[1,0,0] neg_hi:[1,0,0]
	v_pk_mul_f32 v[58:59], v[86:87], s[16:17] op_sel_hi:[1,0]
	v_lshl_add_u64 v[170:171], v[118:119], 0, s[2:3]
	s_mov_b64 s[2:3], 0xb4
	v_pk_add_f32 v[90:91], v[10:11], v[60:61] neg_lo:[0,1] neg_hi:[0,1]
	v_pk_add_f32 v[94:95], v[60:61], v[10:11] neg_lo:[0,1] neg_hi:[0,1]
	v_pk_add_f32 v[10:11], v[76:77], v[78:79]
	v_pk_add_f32 v[62:63], v[4:5], v[58:59] op_sel:[0,1] op_sel_hi:[1,0]
	v_pk_mul_f32 v[78:79], v[88:89], s[4:5] op_sel_hi:[1,0]
	v_pk_add_f32 v[4:5], v[4:5], v[58:59] op_sel:[0,1] op_sel_hi:[1,0] neg_lo:[0,1] neg_hi:[0,1]
	v_lshl_add_u64 v[160:161], v[118:119], 0, s[2:3]
	s_mov_b32 s2, 0x3e9e377a
	v_pk_add_f32 v[62:63], v[78:79], v[62:63] op_sel:[1,0] op_sel_hi:[0,1]
	v_pk_add_f32 v[80:81], v[90:91], v[92:93]
	v_pk_fma_f32 v[6:7], v[8:9], 0.5, v[6:7] op_sel_hi:[1,0,1] neg_lo:[1,0,0] neg_hi:[1,0,0]
	v_pk_add_f32 v[4:5], v[4:5], v[78:79] op_sel:[0,1] op_sel_hi:[1,0] neg_lo:[0,1] neg_hi:[0,1]
	v_pk_fma_f32 v[2:3], v[66:67], s[4:5], v[2:3] op_sel:[1,0,0] op_sel_hi:[0,0,1]
	v_pk_fma_f32 v[60:61], v[66:67], s[4:5], v[56:57] op_sel:[1,0,0] op_sel_hi:[0,0,1] neg_lo:[1,0,0] neg_hi:[1,0,0]
	v_pk_add_f32 v[66:67], v[82:83], v[84:85]
	v_pk_fma_f32 v[82:83], v[80:81], s[2:3], v[62:63] op_sel_hi:[1,0,1]
	v_mov_b32_e32 v63, v5
	v_pk_fma_f32 v[58:59], v[88:89], s[16:17], v[6:7] op_sel:[0,0,1] op_sel_hi:[1,0,0] neg_lo:[1,0,0] neg_hi:[1,0,0]
	v_pk_fma_f32 v[6:7], v[88:89], s[16:17], v[6:7] op_sel:[0,0,1] op_sel_hi:[1,0,0]
	v_pk_add_f32 v[8:9], v[94:95], v[96:97]
	v_pk_fma_f32 v[78:79], v[80:81], s[2:3], v[4:5] op_sel_hi:[1,0,1]
	v_pk_fma_f32 v[4:5], v[80:81], s[2:3], v[62:63] op_sel_hi:[1,0,1]
	v_pk_fma_f32 v[6:7], v[86:87], s[4:5], v[6:7] op_sel_hi:[1,0,1] neg_lo:[1,0,0] neg_hi:[1,0,0]
	v_pk_fma_f32 v[80:81], v[86:87], s[4:5], v[58:59] op_sel_hi:[1,0,1]
	v_pk_mul_f32 v[8:9], v[8:9], s[2:3] op_sel_hi:[1,0]
	v_mov_b32_e32 v58, v80
	v_mov_b32_e32 v59, v7
	s_mov_b32 s18, 0x3f4f1bbd
	v_mov_b32_e32 v57, v3
	v_pk_add_f32 v[84:85], v[8:9], v[58:59] op_sel:[1,0] op_sel_hi:[0,1]
	v_pk_mul_f32 v[58:59], v[4:5], s[18:19] op_sel_hi:[1,0]
	v_mov_b32_e32 v3, v61
	s_mov_b32 s19, s4
	v_pk_fma_f32 v[86:87], v[4:5], s[4:5], v[58:59] op_sel:[0,0,1] op_sel_hi:[1,1,0] neg_lo:[0,0,1] neg_hi:[0,0,1]
	v_pk_fma_f32 v[58:59], v[10:11], s[2:3], v[2:3] op_sel_hi:[1,0,1]
	v_pk_mul_f32 v[2:3], v[82:83], s[18:19] op_sel:[1,0]
	s_mov_b32 s20, s4
	s_mov_b32 s21, s18
	v_pk_fma_f32 v[62:63], v[78:79], s[20:21], v[2:3]
	v_pk_fma_f32 v[2:3], v[78:79], s[20:21], v[2:3] op_sel_hi:[0,1,1] neg_lo:[0,0,1] neg_hi:[0,0,1]
	s_waitcnt lgkmcnt(1)
	v_pk_add_f32 v[72:73], v[32:33], v[36:37]
	v_mov_b32_e32 v56, v60
	v_mov_b32_e32 v63, v3
	v_pk_mul_f32 v[2:3], v[84:85], s[16:17] op_sel_hi:[1,0]
	v_pk_fma_f32 v[76:77], v[10:11], s[2:3], v[56:57] op_sel_hi:[1,0,1]
	v_pk_fma_f32 v[60:61], v[84:85], s[2:3], v[2:3] op_sel:[0,0,1] op_sel_hi:[1,0,0]
	v_pk_fma_f32 v[2:3], v[84:85], s[2:3], v[2:3] op_sel:[0,0,1] op_sel_hi:[1,0,0] neg_lo:[0,0,1] neg_hi:[0,0,1]
	v_mov_b32_e32 v7, v81
	v_pk_add_f32 v[72:73], v[72:73], v[40:41]
	v_pk_add_f32 v[74:75], v[12:13], v[16:17]
	v_mov_b32_e32 v61, v3
	v_pk_add_f32 v[2:3], v[8:9], v[6:7] op_sel:[1,0] op_sel_hi:[0,1]
	v_pk_add_f32 v[8:9], v[76:77], v[86:87]
	v_pk_add_f32 v[6:7], v[76:77], v[86:87] neg_lo:[0,1] neg_hi:[0,1]
	v_mul_lo_u16_e32 v76, 10, v118
	v_pk_add_f32 v[72:73], v[72:73], v[44:45]
	v_lshlrev_b32_e32 v100, 3, v76
	v_pk_add_f32 v[78:79], v[72:73], v[48:49]
	v_pk_add_f32 v[72:73], v[74:75], v[20:21]
	;; [unrolled: 1-line block ×3, first 2 shown]
	v_pk_add_f32 v[76:77], v[36:37], v[48:49] neg_lo:[0,1] neg_hi:[0,1]
	v_pk_fma_f32 v[74:75], v[74:75], 0.5, v[32:33] op_sel_hi:[1,0,1] neg_lo:[1,0,0] neg_hi:[1,0,0]
	v_pk_mul_f32 v[82:83], v[76:77], s[16:17] op_sel_hi:[1,0]
	v_pk_add_f32 v[84:85], v[40:41], v[44:45] neg_lo:[0,1] neg_hi:[0,1]
	v_pk_add_f32 v[88:89], v[36:37], v[40:41] neg_lo:[0,1] neg_hi:[0,1]
	;; [unrolled: 1-line block ×3, first 2 shown]
	v_pk_mul_f32 v[86:87], v[84:85], s[4:5] op_sel_hi:[1,0]
	v_pk_add_f32 v[88:89], v[88:89], v[90:91]
	v_pk_add_f32 v[90:91], v[74:75], v[82:83] op_sel:[0,1] op_sel_hi:[1,0]
	v_pk_add_f32 v[74:75], v[74:75], v[82:83] op_sel:[0,1] op_sel_hi:[1,0] neg_lo:[0,1] neg_hi:[0,1]
	v_pk_add_f32 v[94:95], v[20:21], v[16:17] neg_lo:[0,1] neg_hi:[0,1]
	v_pk_add_f32 v[82:83], v[74:75], v[86:87] op_sel:[0,1] op_sel_hi:[1,0] neg_lo:[0,1] neg_hi:[0,1]
	v_pk_add_f32 v[86:87], v[90:91], v[86:87] op_sel:[0,1] op_sel_hi:[1,0]
	v_mov_b32_e32 v75, v83
	v_mov_b32_e32 v74, v86
	v_pk_fma_f32 v[90:91], v[88:89], s[2:3], v[74:75] op_sel_hi:[1,0,1]
	v_pk_add_f32 v[74:75], v[36:37], v[48:49]
	v_pk_add_f32 v[36:37], v[40:41], v[36:37] neg_lo:[0,1] neg_hi:[0,1]
	v_pk_add_f32 v[40:41], v[44:45], v[48:49] neg_lo:[0,1] neg_hi:[0,1]
	;; [unrolled: 1-line block ×3, first 2 shown]
	s_waitcnt lgkmcnt(0)
	v_pk_add_f32 v[48:49], v[16:17], v[28:29]
	v_pk_fma_f32 v[32:33], v[74:75], 0.5, v[32:33] op_sel_hi:[1,0,1] neg_lo:[1,0,0] neg_hi:[1,0,0]
	v_pk_add_f32 v[36:37], v[36:37], v[40:41]
	v_pk_add_f32 v[40:41], v[16:17], v[28:29] neg_lo:[0,1] neg_hi:[0,1]
	v_pk_fma_f32 v[48:49], v[48:49], 0.5, v[12:13] op_sel_hi:[1,0,1] neg_lo:[1,0,0] neg_hi:[1,0,0]
	v_pk_mul_f32 v[74:75], v[44:45], s[16:17] op_sel_hi:[1,0]
	v_pk_add_f32 v[96:97], v[24:25], v[28:29] neg_lo:[0,1] neg_hi:[0,1]
	v_pk_mul_f32 v[92:93], v[40:41], s[4:5] op_sel_hi:[1,0]
	v_pk_add_f32 v[94:95], v[94:95], v[96:97]
	v_pk_add_f32 v[96:97], v[48:49], v[74:75] op_sel:[0,1] op_sel_hi:[1,0] neg_lo:[0,1] neg_hi:[0,1]
	v_pk_add_f32 v[48:49], v[48:49], v[74:75] op_sel:[0,1] op_sel_hi:[1,0]
	v_pk_mul_f32 v[76:77], v[76:77], s[4:5] op_sel_hi:[1,0]
	v_pk_add_f32 v[48:49], v[48:49], v[92:93] op_sel:[0,1] op_sel_hi:[1,0] neg_lo:[0,1] neg_hi:[0,1]
	v_pk_add_f32 v[92:93], v[96:97], v[92:93] op_sel:[0,1] op_sel_hi:[1,0]
	v_mov_b32_e32 v75, v49
	v_mov_b32_e32 v74, v92
	v_pk_fma_f32 v[74:75], v[94:95], s[2:3], v[74:75] op_sel_hi:[1,0,1]
	v_pk_add_f32 v[72:73], v[72:73], v[24:25]
	v_pk_mul_f32 v[96:97], v[74:75], s[16:17] op_sel_hi:[1,0]
	v_pk_add_f32 v[16:17], v[16:17], v[20:21] neg_lo:[0,1] neg_hi:[0,1]
	v_pk_fma_f32 v[98:99], v[74:75], s[2:3], v[96:97] op_sel:[0,0,1] op_sel_hi:[1,0,0]
	v_pk_fma_f32 v[74:75], v[74:75], s[2:3], v[96:97] op_sel:[0,0,1] op_sel_hi:[1,0,0] neg_lo:[0,0,1] neg_hi:[0,0,1]
	v_pk_add_f32 v[80:81], v[72:73], v[28:29]
	v_mov_b32_e32 v99, v75
	v_pk_mul_f32 v[74:75], v[84:85], s[16:17] op_sel_hi:[1,0]
	v_mov_b32_e32 v49, v93
	v_pk_add_f32 v[84:85], v[32:33], v[74:75] op_sel:[0,1] op_sel_hi:[1,0] neg_lo:[0,1] neg_hi:[0,1]
	v_pk_add_f32 v[32:33], v[32:33], v[74:75] op_sel:[0,1] op_sel_hi:[1,0]
	v_pk_fma_f32 v[48:49], v[94:95], s[2:3], v[48:49] op_sel_hi:[1,0,1]
	v_pk_add_f32 v[32:33], v[32:33], v[76:77] op_sel:[0,1] op_sel_hi:[1,0] neg_lo:[0,1] neg_hi:[0,1]
	v_pk_add_f32 v[76:77], v[84:85], v[76:77] op_sel:[0,1] op_sel_hi:[1,0]
	v_mov_b32_e32 v75, v33
	v_mov_b32_e32 v74, v76
	;; [unrolled: 1-line block ×3, first 2 shown]
	v_pk_fma_f32 v[84:85], v[36:37], s[2:3], v[74:75] op_sel_hi:[1,0,1]
	v_pk_fma_f32 v[32:33], v[36:37], s[2:3], v[32:33] op_sel_hi:[1,0,1]
	v_pk_add_f32 v[36:37], v[20:21], v[24:25]
	v_pk_add_f32 v[20:21], v[28:29], v[24:25] neg_lo:[0,1] neg_hi:[0,1]
	v_pk_fma_f32 v[12:13], v[36:37], 0.5, v[12:13] op_sel_hi:[1,0,1] neg_lo:[1,0,0] neg_hi:[1,0,0]
	v_pk_mul_f32 v[24:25], v[40:41], s[16:17] op_sel_hi:[1,0]
	v_pk_mul_f32 v[36:37], v[44:45], s[4:5] op_sel_hi:[1,0]
	v_pk_add_f32 v[28:29], v[12:13], v[24:25] op_sel:[0,1] op_sel_hi:[1,0]
	v_pk_add_f32 v[12:13], v[12:13], v[24:25] op_sel:[0,1] op_sel_hi:[1,0] neg_lo:[0,1] neg_hi:[0,1]
	v_pk_add_f32 v[16:17], v[16:17], v[20:21]
	v_pk_add_f32 v[28:29], v[36:37], v[28:29] op_sel:[1,0] op_sel_hi:[0,1]
	v_pk_add_f32 v[12:13], v[12:13], v[36:37] op_sel:[0,1] op_sel_hi:[1,0] neg_lo:[0,1] neg_hi:[0,1]
	v_pk_fma_f32 v[40:41], v[16:17], s[2:3], v[28:29] op_sel_hi:[1,0,1]
	v_pk_fma_f32 v[24:25], v[16:17], s[2:3], v[12:13] op_sel_hi:[1,0,1]
	v_mov_b32_e32 v13, v29
	v_pk_fma_f32 v[12:13], v[16:17], s[2:3], v[12:13] op_sel_hi:[1,0,1]
	s_mov_b32 s24, s5
	s_mov_b32 s25, s4
	v_pk_mul_f32 v[16:17], v[12:13], s[18:19] op_sel_hi:[1,0]
	s_mov_b32 s22, 0xbf737871
	s_mov_b32 s23, s16
	v_pk_mul_f32 v[92:93], v[48:49], s[2:3] op_sel_hi:[1,0]
	v_pk_fma_f32 v[12:13], v[12:13], s[24:25], v[16:17] op_sel:[0,0,1] op_sel_hi:[1,1,0] neg_lo:[0,0,1] neg_hi:[0,0,1]
	v_pk_mul_f32 v[16:17], v[40:41], s[18:19] op_sel_hi:[0,1]
	v_pk_fma_f32 v[48:49], v[48:49], s[22:23], v[92:93] op_sel:[0,0,1] op_sel_hi:[1,1,0] neg_lo:[0,0,1] neg_hi:[0,0,1]
	v_mov_b32_e32 v83, v87
	v_pk_fma_f32 v[28:29], v[24:25], s[20:21], v[16:17] op_sel:[1,0,0]
	v_pk_fma_f32 v[16:17], v[24:25], s[20:21], v[16:17] op_sel:[1,0,0] neg_lo:[0,0,1] neg_hi:[0,0,1]
	v_pk_add_f32 v[74:75], v[84:85], v[98:99]
	v_pk_add_f32 v[76:77], v[32:33], v[48:49] op_sel:[0,1] op_sel_hi:[1,0]
	v_pk_fma_f32 v[20:21], v[88:89], s[2:3], v[82:83] op_sel_hi:[1,0,1]
	v_mov_b32_e32 v29, v17
	s_barrier
	v_pk_add_f32 v[72:73], v[78:79], v[80:81]
	ds_write_b128 v100, v[74:77] offset:16
	v_pk_add_f32 v[74:75], v[90:91], v[28:29]
	v_pk_add_f32 v[16:17], v[20:21], v[12:13] op_sel:[1,0] op_sel_hi:[0,1]
	ds_write_b128 v100, v[72:75]
	v_pk_add_f32 v[74:75], v[78:79], v[80:81] neg_lo:[0,1] neg_hi:[0,1]
	v_mov_b32_e32 v72, v17
	v_mov_b32_e32 v73, v16
	ds_write_b128 v100, v[72:75] offset:32
	v_pk_add_f32 v[72:73], v[90:91], v[28:29] neg_lo:[0,1] neg_hi:[0,1]
	v_pk_add_f32 v[74:75], v[84:85], v[98:99] neg_lo:[0,1] neg_hi:[0,1]
	v_pk_add_f32 v[24:25], v[42:43], v[46:47]
	v_pk_add_f32 v[28:29], v[38:39], v[50:51] neg_lo:[0,1] neg_hi:[0,1]
	ds_write_b128 v100, v[72:75] offset:48
	v_pk_add_f32 v[72:73], v[32:33], v[48:49] op_sel:[0,1] op_sel_hi:[1,0] neg_lo:[0,1] neg_hi:[0,1]
	v_pk_fma_f32 v[24:25], v[24:25], 0.5, v[34:35] op_sel_hi:[1,0,1] neg_lo:[1,0,0] neg_hi:[1,0,0]
	v_pk_mul_f32 v[32:33], v[28:29], s[16:17] op_sel_hi:[1,0]
	v_pk_add_f32 v[36:37], v[42:43], v[46:47] neg_lo:[0,1] neg_hi:[0,1]
	v_pk_add_f32 v[44:45], v[38:39], v[42:43] neg_lo:[0,1] neg_hi:[0,1]
	;; [unrolled: 1-line block ×3, first 2 shown]
	v_pk_mul_f32 v[40:41], v[36:37], s[4:5] op_sel_hi:[1,0]
	v_pk_add_f32 v[44:45], v[44:45], v[48:49]
	v_pk_add_f32 v[48:49], v[24:25], v[32:33] op_sel:[0,1] op_sel_hi:[1,0]
	v_pk_add_f32 v[24:25], v[24:25], v[32:33] op_sel:[0,1] op_sel_hi:[1,0] neg_lo:[0,1] neg_hi:[0,1]
	v_pk_add_f32 v[12:13], v[20:21], v[12:13] op_sel:[1,0] op_sel_hi:[0,1] neg_lo:[0,1] neg_hi:[0,1]
	;; [unrolled: 1-line block ×3, first 2 shown]
	v_pk_add_f32 v[40:41], v[48:49], v[40:41] op_sel:[0,1] op_sel_hi:[1,0]
	v_pk_add_f32 v[70:71], v[34:35], v[38:39]
	v_mov_b32_e32 v75, v12
	v_mul_u32_u24_e32 v12, 10, v170
	v_mov_b32_e32 v32, v40
	v_mov_b32_e32 v33, v25
	;; [unrolled: 1-line block ×3, first 2 shown]
	v_lshlrev_b32_e32 v219, 3, v12
	v_pk_add_f32 v[12:13], v[70:71], v[42:43]
	v_pk_fma_f32 v[48:49], v[44:45], s[2:3], v[32:33] op_sel_hi:[1,0,1]
	v_pk_add_f32 v[32:33], v[38:39], v[50:51]
	v_pk_add_f32 v[12:13], v[12:13], v[46:47]
	v_pk_fma_f32 v[32:33], v[32:33], 0.5, v[34:35] op_sel_hi:[1,0,1] neg_lo:[1,0,0] neg_hi:[1,0,0]
	v_pk_add_f32 v[34:35], v[42:43], v[38:39] neg_lo:[0,1] neg_hi:[0,1]
	v_pk_add_f32 v[38:39], v[46:47], v[50:51] neg_lo:[0,1] neg_hi:[0,1]
	;; [unrolled: 1-line block ×3, first 2 shown]
	v_pk_add_f32 v[46:47], v[18:19], v[30:31]
	v_pk_add_f32 v[68:69], v[14:15], v[18:19]
	ds_write_b128 v100, v[72:75] offset:64
	v_pk_add_f32 v[16:17], v[12:13], v[50:51]
	v_pk_add_f32 v[34:35], v[34:35], v[38:39]
	v_pk_add_f32 v[38:39], v[18:19], v[30:31] neg_lo:[0,1] neg_hi:[0,1]
	v_pk_fma_f32 v[46:47], v[46:47], 0.5, v[14:15] op_sel_hi:[1,0,1] neg_lo:[1,0,0] neg_hi:[1,0,0]
	v_pk_mul_f32 v[50:51], v[42:43], s[16:17] op_sel_hi:[1,0]
	v_pk_add_f32 v[70:71], v[22:23], v[18:19] neg_lo:[0,1] neg_hi:[0,1]
	v_pk_add_f32 v[72:73], v[26:27], v[30:31] neg_lo:[0,1] neg_hi:[0,1]
	v_pk_add_f32 v[12:13], v[68:69], v[22:23]
	v_pk_mul_f32 v[68:69], v[38:39], s[4:5] op_sel_hi:[1,0]
	v_pk_add_f32 v[70:71], v[70:71], v[72:73]
	v_pk_add_f32 v[72:73], v[46:47], v[50:51] op_sel:[0,1] op_sel_hi:[1,0] neg_lo:[0,1] neg_hi:[0,1]
	v_pk_add_f32 v[46:47], v[46:47], v[50:51] op_sel:[0,1] op_sel_hi:[1,0]
	v_pk_add_f32 v[50:51], v[72:73], v[68:69] op_sel:[0,1] op_sel_hi:[1,0]
	v_pk_add_f32 v[46:47], v[46:47], v[68:69] op_sel:[0,1] op_sel_hi:[1,0] neg_lo:[0,1] neg_hi:[0,1]
	v_mov_b32_e32 v68, v50
	v_mov_b32_e32 v69, v47
	v_pk_fma_f32 v[68:69], v[70:71], s[2:3], v[68:69] op_sel_hi:[1,0,1]
	v_pk_mul_f32 v[36:37], v[36:37], s[16:17] op_sel_hi:[1,0]
	v_pk_mul_f32 v[72:73], v[68:69], s[16:17] op_sel_hi:[1,0]
	;; [unrolled: 1-line block ×3, first 2 shown]
	v_pk_fma_f32 v[74:75], v[68:69], s[2:3], v[72:73] op_sel:[0,0,1] op_sel_hi:[1,0,0]
	v_pk_fma_f32 v[68:69], v[68:69], s[2:3], v[72:73] op_sel:[0,0,1] op_sel_hi:[1,0,0] neg_lo:[0,0,1] neg_hi:[0,0,1]
	v_mov_b32_e32 v47, v51
	v_mov_b32_e32 v75, v69
	v_pk_add_f32 v[68:69], v[32:33], v[36:37] op_sel:[0,1] op_sel_hi:[1,0] neg_lo:[0,1] neg_hi:[0,1]
	v_pk_add_f32 v[32:33], v[32:33], v[36:37] op_sel:[0,1] op_sel_hi:[1,0]
	v_pk_fma_f32 v[46:47], v[70:71], s[2:3], v[46:47] op_sel_hi:[1,0,1]
	v_pk_add_f32 v[36:37], v[32:33], v[28:29] op_sel:[0,1] op_sel_hi:[1,0] neg_lo:[0,1] neg_hi:[0,1]
	v_pk_add_f32 v[28:29], v[68:69], v[28:29] op_sel:[0,1] op_sel_hi:[1,0]
	v_mov_b32_e32 v33, v37
	v_mov_b32_e32 v32, v28
	v_pk_mul_f32 v[50:51], v[46:47], s[2:3] op_sel_hi:[1,0]
	v_mov_b32_e32 v37, v29
	v_pk_fma_f32 v[68:69], v[34:35], s[2:3], v[32:33] op_sel_hi:[1,0,1]
	v_pk_fma_f32 v[46:47], v[46:47], s[22:23], v[50:51] op_sel:[0,0,1] op_sel_hi:[1,1,0] neg_lo:[0,0,1] neg_hi:[0,0,1]
	v_pk_fma_f32 v[28:29], v[34:35], s[2:3], v[36:37] op_sel_hi:[1,0,1]
	v_pk_add_f32 v[32:33], v[68:69], v[74:75]
	v_pk_add_f32 v[34:35], v[28:29], v[46:47] op_sel:[0,1] op_sel_hi:[1,0]
	ds_write_b128 v219, v[32:35] offset:16
	v_pk_add_f32 v[32:33], v[22:23], v[26:27]
	v_pk_add_f32 v[18:19], v[18:19], v[22:23] neg_lo:[0,1] neg_hi:[0,1]
	v_pk_add_f32 v[22:23], v[30:31], v[26:27] neg_lo:[0,1] neg_hi:[0,1]
	v_mov_b32_e32 v25, v41
	v_pk_add_f32 v[12:13], v[12:13], v[26:27]
	v_pk_fma_f32 v[14:15], v[32:33], 0.5, v[14:15] op_sel_hi:[1,0,1] neg_lo:[1,0,0] neg_hi:[1,0,0]
	v_pk_add_f32 v[18:19], v[18:19], v[22:23]
	v_pk_fma_f32 v[22:23], v[44:45], s[2:3], v[24:25] op_sel_hi:[1,0,1]
	v_pk_mul_f32 v[24:25], v[38:39], s[16:17] op_sel_hi:[1,0]
	v_pk_add_f32 v[20:21], v[12:13], v[30:31]
	v_pk_add_f32 v[26:27], v[14:15], v[24:25] op_sel:[0,1] op_sel_hi:[1,0]
	v_pk_mul_f32 v[30:31], v[42:43], s[4:5] op_sel_hi:[1,0]
	v_pk_add_f32 v[14:15], v[14:15], v[24:25] op_sel:[0,1] op_sel_hi:[1,0] neg_lo:[0,1] neg_hi:[0,1]
	v_pk_add_f32 v[26:27], v[30:31], v[26:27] op_sel:[1,0] op_sel_hi:[0,1]
	v_pk_add_f32 v[14:15], v[14:15], v[30:31] op_sel:[0,1] op_sel_hi:[1,0] neg_lo:[0,1] neg_hi:[0,1]
	v_pk_fma_f32 v[32:33], v[18:19], s[2:3], v[26:27] op_sel_hi:[1,0,1]
	v_pk_fma_f32 v[24:25], v[18:19], s[2:3], v[14:15] op_sel_hi:[1,0,1]
	v_mov_b32_e32 v15, v27
	v_pk_fma_f32 v[14:15], v[18:19], s[2:3], v[14:15] op_sel_hi:[1,0,1]
	v_pk_add_f32 v[12:13], v[16:17], v[20:21]
	v_pk_mul_f32 v[18:19], v[14:15], s[18:19] op_sel_hi:[1,0]
	s_load_dwordx2 s[0:1], s[0:1], 0x8
	v_pk_fma_f32 v[18:19], v[14:15], s[24:25], v[18:19] op_sel:[0,0,1] op_sel_hi:[1,1,0] neg_lo:[0,0,1] neg_hi:[0,0,1]
	v_pk_mul_f32 v[14:15], v[32:33], s[18:19] op_sel_hi:[0,1]
	v_pk_fma_f32 v[26:27], v[24:25], s[20:21], v[14:15] op_sel:[1,0,0]
	v_pk_fma_f32 v[14:15], v[24:25], s[20:21], v[14:15] op_sel:[1,0,0] neg_lo:[0,0,1] neg_hi:[0,0,1]
	v_pk_add_f32 v[24:25], v[22:23], v[18:19] op_sel:[1,0] op_sel_hi:[0,1]
	v_mov_b32_e32 v27, v15
	v_pk_add_f32 v[14:15], v[48:49], v[26:27]
	ds_write_b128 v219, v[12:15]
	v_pk_add_f32 v[14:15], v[16:17], v[20:21] neg_lo:[0,1] neg_hi:[0,1]
	v_mov_b32_e32 v12, v25
	v_mov_b32_e32 v13, v24
	ds_write_b128 v219, v[12:15] offset:32
	v_pk_add_f32 v[12:13], v[48:49], v[26:27] neg_lo:[0,1] neg_hi:[0,1]
	v_pk_add_f32 v[14:15], v[68:69], v[74:75] neg_lo:[0,1] neg_hi:[0,1]
	v_pk_add_f32 v[16:17], v[22:23], v[18:19] op_sel:[1,0] op_sel_hi:[0,1] neg_lo:[0,1] neg_hi:[0,1]
	v_mov_b32_e32 v56, v0
	v_mov_b32_e32 v57, v65
	v_pk_mul_f32 v[4:5], v[2:3], s[22:23]
	v_mov_b32_e32 v65, v1
	ds_write_b128 v219, v[12:15] offset:48
	v_pk_add_f32 v[12:13], v[28:29], v[46:47] op_sel:[0,1] op_sel_hi:[1,0] neg_lo:[0,1] neg_hi:[0,1]
	v_mov_b32_e32 v14, v17
	v_mov_b32_e32 v15, v16
	v_pk_fma_f32 v[56:57], v[66:67], s[2:3], v[56:57] op_sel_hi:[1,0,1]
	v_pk_fma_f32 v[64:65], v[66:67], s[2:3], v[64:65] op_sel_hi:[1,0,1]
	v_pk_fma_f32 v[66:67], v[2:3], s[2:3], v[4:5] op_sel:[0,0,1] op_sel_hi:[1,0,0] neg_lo:[1,0,0] neg_hi:[1,0,0]
	ds_write_b128 v219, v[12:15] offset:64
	v_mul_u32_u24_e32 v12, 10, v160
	v_pk_add_f32 v[10:11], v[52:53], v[54:55] op_sel:[0,1] op_sel_hi:[1,0] neg_lo:[0,1] neg_hi:[0,1]
	v_pk_add_f32 v[0:1], v[58:59], v[62:63] neg_lo:[0,1] neg_hi:[0,1]
	v_pk_add_f32 v[2:3], v[56:57], v[60:61] neg_lo:[0,1] neg_hi:[0,1]
	;; [unrolled: 1-line block ×3, first 2 shown]
	v_accvgpr_write_b32 a47, v100
	v_accvgpr_write_b32 a64, v12
	s_and_saveexec_b64 s[2:3], s[6:7]
	s_cbranch_execz .LBB0_7
; %bb.6:
	v_mov_b32_e32 v12, v55
	v_mov_b32_e32 v13, v54
	v_accvgpr_read_b32 v14, a64
	v_lshlrev_b32_e32 v16, 3, v14
	v_pk_add_f32 v[12:13], v[52:53], v[12:13]
	v_pk_add_f32 v[14:15], v[58:59], v[62:63]
	ds_write_b128 v16, v[12:15]
	v_pk_add_f32 v[12:13], v[56:57], v[60:61]
	v_pk_add_f32 v[14:15], v[64:65], v[66:67]
	ds_write_b128 v16, v[12:15] offset:16
	ds_write_b128 v16, v[8:11] offset:32
	;; [unrolled: 1-line block ×4, first 2 shown]
.LBB0_7:
	s_or_b64 exec, exec, s[2:3]
	v_add_u32_e32 v12, 0x1400, v218
	s_waitcnt lgkmcnt(0)
	s_barrier
	ds_read2_b64 v[92:95], v12 offset0:110 offset1:200
	v_add_u32_e32 v12, 0x2c00, v218
	ds_read2_b64 v[88:91], v12 offset0:92 offset1:182
	v_add_u32_e32 v12, 0x400, v218
	;; [unrolled: 2-line block ×7, first 2 shown]
	v_add_u32_e32 v16, 0x2800, v218
	ds_read2_b64 v[64:67], v12 offset0:68 offset1:158
	v_add_u32_e32 v12, 0x1000, v218
	ds_read2_b64 v[24:27], v16 offset0:10 offset1:100
	v_add_u32_e32 v16, 0x3c00, v218
	ds_read2_b64 v[84:87], v218 offset1:90
	ds_read2_b64 v[12:15], v12 offset0:28 offset1:118
	ds_read2_b64 v[20:23], v16 offset0:120 offset1:210
	v_cmp_lt_u16_e64 s[4:5], 29, v118
	v_cmp_gt_u16_e64 s[2:3], 30, v118
	s_and_saveexec_b64 s[16:17], s[2:3]
	s_cbranch_execz .LBB0_9
; %bb.8:
	ds_read_b64 v[8:9], v218 offset:5760
	ds_read_b64 v[10:11], v218 offset:11760
	;; [unrolled: 1-line block ×3, first 2 shown]
.LBB0_9:
	s_or_b64 exec, exec, s[16:17]
	v_add_u16_e32 v128, 0x2d0, v118
	s_mov_b32 s23, 0xcccd
	v_mul_u32_u24_e32 v16, 0xcccd, v128
	s_mov_b64 s[18:19], 0x168
	v_add_u16_e32 v129, 0x276, v118
	v_mul_u32_u24_sdwa v17, v160, s23 dst_sel:DWORD dst_unused:UNUSED_PAD src0_sel:WORD_0 src1_sel:DWORD
	v_lshrrev_b32_e32 v16, 19, v16
	v_lshl_add_u64 v[172:173], v[118:119], 0, s[18:19]
	v_mul_u32_u24_e32 v19, 0xcccd, v129
	v_lshrrev_b32_e32 v104, 19, v17
	v_accvgpr_write_b32 a45, v16
	v_mul_lo_u16_e32 v16, 10, v16
	v_mul_u32_u24_sdwa v17, v172, s23 dst_sel:DWORD dst_unused:UNUSED_PAD src0_sel:WORD_0 src1_sel:DWORD
	v_lshrrev_b32_e32 v106, 19, v19
	v_mul_lo_u16_e32 v36, 10, v104
	v_sub_u16_e32 v16, v128, v16
	v_lshrrev_b32_e32 v109, 19, v17
	v_mul_lo_u16_e32 v17, 10, v106
	v_sub_u16_e32 v111, v160, v36
	v_accvgpr_write_b32 a46, v16
	v_lshlrev_b16_e32 v16, 1, v16
	v_sub_u16_e32 v113, v129, v17
	v_lshlrev_b16_e32 v17, 1, v111
	v_lshlrev_b32_e32 v16, 3, v16
	s_movk_i32 s22, 0xcd
	v_lshlrev_b32_e32 v17, 3, v17
	global_load_dwordx4 v[120:123], v16, s[0:1]
	global_load_dwordx4 v[44:47], v17, s[0:1]
	v_mul_lo_u16_sdwa v16, v118, s22 dst_sel:DWORD dst_unused:UNUSED_PAD src0_sel:BYTE_0 src1_sel:DWORD
	v_lshrrev_b16_e32 v100, 11, v16
	v_mul_lo_u16_e32 v16, 10, v100
	v_sub_u16_e32 v16, v118, v16
	v_and_b32_e32 v101, 0xff, v16
	v_lshlrev_b32_e32 v16, 4, v101
	global_load_dwordx4 v[28:31], v16, s[0:1]
	s_mov_b64 s[20:21], 0x21c
	v_lshl_add_u64 v[102:103], v[118:119], 0, s[20:21]
	v_mul_lo_u16_sdwa v16, v170, s22 dst_sel:DWORD dst_unused:UNUSED_PAD src0_sel:BYTE_0 src1_sel:DWORD
	v_lshrrev_b16_e32 v103, 11, v16
	v_mul_lo_u16_e32 v19, 10, v103
	v_sub_u16_e32 v19, v170, v19
	v_and_b32_e32 v107, 0xff, v19
	v_lshlrev_b32_e32 v19, 4, v107
	global_load_dwordx4 v[32:35], v19, s[0:1]
	s_mov_b64 s[16:17], 0x10e
	v_add_u16_e32 v130, 0x1c2, v118
	v_lshl_add_u64 v[174:175], v[118:119], 0, s[16:17]
	v_mul_u32_u24_e32 v18, 0xcccd, v130
	v_mul_u32_u24_sdwa v16, v174, s23 dst_sel:DWORD dst_unused:UNUSED_PAD src0_sel:WORD_0 src1_sel:DWORD
	v_lshrrev_b32_e32 v105, 19, v18
	v_mul_u32_u24_sdwa v18, v102, s23 dst_sel:DWORD dst_unused:UNUSED_PAD src0_sel:WORD_0 src1_sel:DWORD
	v_lshrrev_b32_e32 v108, 19, v16
	v_mul_lo_u16_e32 v16, 10, v105
	v_lshrrev_b32_e32 v110, 19, v18
	v_mul_lo_u16_e32 v18, 10, v108
	v_mul_lo_u16_e32 v19, 10, v109
	v_sub_u16_e32 v112, v130, v16
	v_mul_lo_u16_e32 v16, 10, v110
	v_sub_u16_e32 v114, v174, v18
	v_sub_u16_e32 v115, v172, v19
	;; [unrolled: 1-line block ×3, first 2 shown]
	v_lshlrev_b16_e32 v19, 1, v114
	v_lshlrev_b16_e32 v36, 1, v115
	;; [unrolled: 1-line block ×5, first 2 shown]
	v_lshlrev_b32_e32 v17, 3, v19
	v_lshlrev_b32_e32 v19, 3, v36
	;; [unrolled: 1-line block ×5, first 2 shown]
	global_load_dwordx4 v[56:59], v17, s[0:1]
	global_load_dwordx4 v[52:55], v19, s[0:1]
	;; [unrolled: 1-line block ×4, first 2 shown]
	s_nop 0
	global_load_dwordx4 v[36:39], v16, s[0:1]
	s_mov_b32 s16, 0x3f5db3d7
	s_waitcnt lgkmcnt(0)
	s_barrier
	s_waitcnt vmcnt(8)
	v_pk_mul_f32 v[16:17], v[10:11], v[120:121] op_sel_hi:[0,1]
	v_pk_mul_f32 v[18:19], v[0:1], v[122:123] op_sel_hi:[0,1]
	v_pk_fma_f32 v[96:97], v[10:11], v[120:121], v[16:17] op_sel:[1,0,1] op_sel_hi:[1,1,0]
	v_pk_fma_f32 v[10:11], v[10:11], v[120:121], v[16:17] op_sel:[1,0,1] op_sel_hi:[1,1,0] neg_lo:[1,0,0] neg_hi:[1,0,0]
	v_pk_fma_f32 v[98:99], v[0:1], v[122:123], v[18:19] op_sel:[1,0,1] op_sel_hi:[1,1,0]
	v_pk_fma_f32 v[0:1], v[0:1], v[122:123], v[18:19] op_sel:[1,0,1] op_sel_hi:[1,1,0] neg_lo:[1,0,0] neg_hi:[1,0,0]
	v_mov_b32_e32 v97, v11
	v_mov_b32_e32 v10, v11
	;; [unrolled: 1-line block ×6, first 2 shown]
	v_pk_add_f32 v[0:1], v[10:11], v[16:17]
	v_pk_add_f32 v[18:19], v[96:97], v[98:99] neg_lo:[0,1] neg_hi:[0,1]
	v_pk_fma_f32 v[96:97], v[0:1], 0.5, v[8:9] op_sel_hi:[1,0,1] neg_lo:[1,0,0] neg_hi:[1,0,0]
	v_accvgpr_write_b32 a56, v120
	v_pk_fma_f32 v[0:1], v[18:19], s[16:17], v[96:97] op_sel_hi:[1,0,1] neg_lo:[1,0,0] neg_hi:[1,0,0]
	v_pk_fma_f32 v[176:177], v[18:19], s[16:17], v[96:97] op_sel_hi:[1,0,1]
	v_mul_u32_u24_e32 v18, 30, v100
	v_add_lshl_u32 v98, v18, v101, 3
	s_waitcnt vmcnt(6)
	v_pk_mul_f32 v[18:19], v[92:93], v[28:29] op_sel:[0,1]
	v_accvgpr_write_b32 a57, v121
	v_pk_fma_f32 v[96:97], v[92:93], v[28:29], v[18:19] op_sel:[0,0,1] op_sel_hi:[1,1,0] neg_lo:[0,0,1] neg_hi:[0,0,1]
	v_pk_fma_f32 v[18:19], v[92:93], v[28:29], v[18:19] op_sel:[0,0,1] op_sel_hi:[1,0,0]
	v_accvgpr_write_b32 a58, v122
	v_mov_b32_e32 v18, v31
	v_mov_b32_e32 v97, v19
	v_pk_mul_f32 v[18:19], v[88:89], v[18:19] op_sel_hi:[1,0]
	v_accvgpr_write_b32 a59, v123
	v_pk_fma_f32 v[92:93], v[88:89], v[30:31], v[18:19] op_sel:[0,0,1] op_sel_hi:[1,1,0] neg_lo:[0,0,1] neg_hi:[0,0,1]
	v_pk_fma_f32 v[18:19], v[88:89], v[30:31], v[18:19] op_sel:[0,0,1] op_sel_hi:[1,0,0]
	v_accvgpr_write_b32 a68, v98
	v_mov_b32_e32 v93, v19
	v_pk_add_f32 v[88:89], v[96:97], v[92:93]
	v_pk_add_f32 v[18:19], v[84:85], v[96:97]
	v_pk_fma_f32 v[84:85], v[88:89], 0.5, v[84:85] op_sel_hi:[1,0,1] neg_lo:[1,0,0] neg_hi:[1,0,0]
	v_pk_add_f32 v[88:89], v[96:97], v[92:93] neg_lo:[0,1] neg_hi:[0,1]
	v_pk_add_f32 v[18:19], v[18:19], v[92:93]
	v_pk_mul_f32 v[88:89], v[88:89], s[16:17] op_sel_hi:[1,0]
	s_nop 0
	v_pk_add_f32 v[92:93], v[84:85], v[88:89] op_sel:[0,1] op_sel_hi:[1,0]
	v_pk_add_f32 v[84:85], v[84:85], v[88:89] op_sel:[0,1] op_sel_hi:[1,0] neg_lo:[0,1] neg_hi:[0,1]
	v_mov_b32_e32 v88, v92
	v_mov_b32_e32 v89, v85
	ds_write2_b64 v98, v[18:19], v[88:89] offset1:10
	v_mul_u32_u24_e32 v18, 30, v103
	v_mov_b32_e32 v85, v93
	v_add_lshl_u32 v92, v18, v107, 3
	s_waitcnt vmcnt(5)
	v_pk_mul_f32 v[18:19], v[94:95], v[32:33] op_sel:[0,1]
	ds_write_b64 v98, v[84:85] offset:160
	v_pk_fma_f32 v[84:85], v[94:95], v[32:33], v[18:19] op_sel:[0,0,1] op_sel_hi:[1,1,0] neg_lo:[0,0,1] neg_hi:[0,0,1]
	v_pk_fma_f32 v[18:19], v[94:95], v[32:33], v[18:19] op_sel:[0,0,1] op_sel_hi:[1,0,0]
	v_accvgpr_write_b32 a69, v92
	v_mov_b32_e32 v18, v35
	v_mov_b32_e32 v85, v19
	v_pk_mul_f32 v[18:19], v[90:91], v[18:19] op_sel_hi:[1,0]
	s_nop 0
	v_pk_fma_f32 v[88:89], v[90:91], v[34:35], v[18:19] op_sel:[0,0,1] op_sel_hi:[1,1,0] neg_lo:[0,0,1] neg_hi:[0,0,1]
	v_pk_fma_f32 v[18:19], v[90:91], v[34:35], v[18:19] op_sel:[0,0,1] op_sel_hi:[1,0,0]
	s_nop 0
	v_mov_b32_e32 v89, v19
	v_pk_add_f32 v[18:19], v[86:87], v[84:85]
	v_pk_add_f32 v[90:91], v[84:85], v[88:89]
	v_pk_add_f32 v[84:85], v[84:85], v[88:89] neg_lo:[0,1] neg_hi:[0,1]
	v_pk_fma_f32 v[86:87], v[90:91], 0.5, v[86:87] op_sel_hi:[1,0,1] neg_lo:[1,0,0] neg_hi:[1,0,0]
	v_pk_mul_f32 v[84:85], v[84:85], s[16:17] op_sel_hi:[1,0]
	v_pk_add_f32 v[18:19], v[18:19], v[88:89]
	v_pk_add_f32 v[88:89], v[86:87], v[84:85] op_sel:[0,1] op_sel_hi:[1,0]
	v_pk_add_f32 v[84:85], v[86:87], v[84:85] op_sel:[0,1] op_sel_hi:[1,0] neg_lo:[0,1] neg_hi:[0,1]
	v_mov_b32_e32 v86, v88
	v_mov_b32_e32 v87, v85
	ds_write2_b64 v92, v[18:19], v[86:87] offset1:10
	v_mad_legacy_u16 v18, v104, 30, v111
	v_mov_b32_e32 v85, v89
	v_lshlrev_b32_e32 v88, 3, v18
	v_pk_mul_f32 v[18:19], v[80:81], v[44:45] op_sel:[0,1]
	ds_write_b64 v92, v[84:85] offset:160
	v_pk_fma_f32 v[84:85], v[80:81], v[44:45], v[18:19] op_sel:[0,0,1] op_sel_hi:[1,1,0] neg_lo:[0,0,1] neg_hi:[0,0,1]
	v_pk_fma_f32 v[18:19], v[80:81], v[44:45], v[18:19] op_sel:[0,0,1] op_sel_hi:[1,0,0]
	v_accvgpr_write_b32 a70, v88
	v_mov_b32_e32 v18, v47
	v_mov_b32_e32 v85, v19
	v_pk_mul_f32 v[18:19], v[76:77], v[18:19] op_sel_hi:[1,0]
	s_nop 0
	v_pk_fma_f32 v[80:81], v[76:77], v[46:47], v[18:19] op_sel:[0,0,1] op_sel_hi:[1,1,0] neg_lo:[0,0,1] neg_hi:[0,0,1]
	v_pk_fma_f32 v[18:19], v[76:77], v[46:47], v[18:19] op_sel:[0,0,1] op_sel_hi:[1,0,0]
	s_nop 0
	v_mov_b32_e32 v81, v19
	v_pk_add_f32 v[18:19], v[84:85], v[80:81]
	v_pk_add_f32 v[76:77], v[84:85], v[80:81] neg_lo:[0,1] neg_hi:[0,1]
	v_pk_fma_f32 v[18:19], v[18:19], 0.5, v[72:73] op_sel_hi:[1,0,1] neg_lo:[1,0,0] neg_hi:[1,0,0]
	v_pk_mul_f32 v[76:77], v[76:77], s[16:17] op_sel_hi:[1,0]
	v_pk_add_f32 v[72:73], v[72:73], v[84:85]
	v_pk_add_f32 v[86:87], v[18:19], v[76:77] op_sel:[0,1] op_sel_hi:[1,0] neg_lo:[0,1] neg_hi:[0,1]
	v_pk_add_f32 v[18:19], v[18:19], v[76:77] op_sel:[0,1] op_sel_hi:[1,0]
	v_pk_add_f32 v[72:73], v[72:73], v[80:81]
	v_mov_b32_e32 v76, v18
	v_mad_legacy_u16 v18, v108, 30, v114
	v_mov_b32_e32 v77, v87
	v_mov_b32_e32 v87, v19
	v_lshlrev_b32_e32 v84, 3, v18
	s_waitcnt vmcnt(4)
	v_pk_mul_f32 v[18:19], v[82:83], v[56:57] op_sel:[0,1]
	ds_write2_b64 v88, v[72:73], v[76:77] offset1:10
	v_pk_fma_f32 v[72:73], v[82:83], v[56:57], v[18:19] op_sel:[0,0,1] op_sel_hi:[1,1,0] neg_lo:[0,0,1] neg_hi:[0,0,1]
	v_pk_fma_f32 v[18:19], v[82:83], v[56:57], v[18:19] op_sel:[0,0,1] op_sel_hi:[1,0,0]
	ds_write_b64 v88, v[86:87] offset:160
	v_mov_b32_e32 v18, v59
	v_mov_b32_e32 v73, v19
	v_pk_mul_f32 v[18:19], v[78:79], v[18:19] op_sel_hi:[1,0]
	v_accvgpr_write_b32 a71, v84
	v_pk_fma_f32 v[76:77], v[78:79], v[58:59], v[18:19] op_sel:[0,0,1] op_sel_hi:[1,1,0] neg_lo:[0,0,1] neg_hi:[0,0,1]
	v_pk_fma_f32 v[18:19], v[78:79], v[58:59], v[18:19] op_sel:[0,0,1] op_sel_hi:[1,0,0]
	s_nop 0
	v_mov_b32_e32 v77, v19
	v_pk_add_f32 v[18:19], v[72:73], v[76:77]
	v_pk_add_f32 v[78:79], v[72:73], v[76:77] neg_lo:[0,1] neg_hi:[0,1]
	v_pk_fma_f32 v[18:19], v[18:19], 0.5, v[74:75] op_sel_hi:[1,0,1] neg_lo:[1,0,0] neg_hi:[1,0,0]
	v_pk_mul_f32 v[78:79], v[78:79], s[16:17] op_sel_hi:[1,0]
	v_pk_add_f32 v[72:73], v[74:75], v[72:73]
	v_pk_add_f32 v[80:81], v[18:19], v[78:79] op_sel:[0,1] op_sel_hi:[1,0] neg_lo:[0,1] neg_hi:[0,1]
	v_pk_add_f32 v[18:19], v[18:19], v[78:79] op_sel:[0,1] op_sel_hi:[1,0]
	v_pk_add_f32 v[72:73], v[72:73], v[76:77]
	v_mov_b32_e32 v74, v18
	v_mad_legacy_u16 v18, v109, 30, v115
	v_mov_b32_e32 v75, v81
	v_mov_b32_e32 v81, v19
	v_lshlrev_b32_e32 v76, 3, v18
	s_waitcnt vmcnt(3)
	v_pk_mul_f32 v[18:19], v[68:69], v[52:53] op_sel:[0,1]
	ds_write2_b64 v84, v[72:73], v[74:75] offset1:10
	v_pk_fma_f32 v[72:73], v[68:69], v[52:53], v[18:19] op_sel:[0,0,1] op_sel_hi:[1,1,0] neg_lo:[0,0,1] neg_hi:[0,0,1]
	v_pk_fma_f32 v[18:19], v[68:69], v[52:53], v[18:19] op_sel:[0,0,1] op_sel_hi:[1,0,0]
	ds_write_b64 v84, v[80:81] offset:160
	v_mov_b32_e32 v18, v55
	v_mov_b32_e32 v73, v19
	v_pk_mul_f32 v[18:19], v[64:65], v[18:19] op_sel_hi:[1,0]
	v_accvgpr_write_b32 a72, v76
	;; [unrolled: 27-line block ×4, first 2 shown]
	v_pk_fma_f32 v[24:25], v[20:21], v[42:43], v[18:19] op_sel:[0,0,1] op_sel_hi:[1,1,0] neg_lo:[0,0,1] neg_hi:[0,0,1]
	v_pk_fma_f32 v[18:19], v[20:21], v[42:43], v[18:19] op_sel:[0,0,1] op_sel_hi:[1,0,0]
	s_nop 0
	v_mov_b32_e32 v25, v19
	v_pk_add_f32 v[18:19], v[60:61], v[24:25]
	v_pk_add_f32 v[20:21], v[60:61], v[24:25] neg_lo:[0,1] neg_hi:[0,1]
	v_pk_fma_f32 v[18:19], v[18:19], 0.5, v[12:13] op_sel_hi:[1,0,1] neg_lo:[1,0,0] neg_hi:[1,0,0]
	v_pk_mul_f32 v[20:21], v[20:21], s[16:17] op_sel_hi:[1,0]
	v_pk_add_f32 v[12:13], v[12:13], v[60:61]
	v_pk_add_f32 v[62:63], v[18:19], v[20:21] op_sel:[0,1] op_sel_hi:[1,0] neg_lo:[0,1] neg_hi:[0,1]
	v_pk_add_f32 v[18:19], v[18:19], v[20:21] op_sel:[0,1] op_sel_hi:[1,0]
	v_pk_add_f32 v[12:13], v[12:13], v[24:25]
	v_mov_b32_e32 v20, v18
	v_mov_b32_e32 v21, v63
	ds_write2_b64 v64, v[12:13], v[20:21] offset1:10
	v_mad_legacy_u16 v12, v106, 30, v113
	v_lshlrev_b32_e32 v60, 3, v12
	s_waitcnt vmcnt(0)
	v_pk_mul_f32 v[12:13], v[26:27], v[36:37] op_sel:[0,1]
	v_mov_b32_e32 v63, v19
	v_pk_fma_f32 v[18:19], v[26:27], v[36:37], v[12:13] op_sel:[0,0,1] op_sel_hi:[1,1,0] neg_lo:[0,0,1] neg_hi:[0,0,1]
	v_pk_fma_f32 v[12:13], v[26:27], v[36:37], v[12:13] op_sel:[0,0,1] op_sel_hi:[1,0,0]
	v_accvgpr_write_b32 a75, v60
	v_mov_b32_e32 v12, v39
	v_mov_b32_e32 v19, v13
	v_pk_mul_f32 v[12:13], v[22:23], v[12:13] op_sel_hi:[1,0]
	ds_write_b64 v64, v[62:63] offset:160
	v_pk_fma_f32 v[20:21], v[22:23], v[38:39], v[12:13] op_sel:[0,0,1] op_sel_hi:[1,1,0] neg_lo:[0,0,1] neg_hi:[0,0,1]
	v_pk_fma_f32 v[12:13], v[22:23], v[38:39], v[12:13] op_sel:[0,0,1] op_sel_hi:[1,0,0]
	s_nop 0
	v_mov_b32_e32 v21, v13
	v_pk_add_f32 v[12:13], v[18:19], v[20:21]
	v_pk_add_f32 v[22:23], v[18:19], v[20:21] neg_lo:[0,1] neg_hi:[0,1]
	v_pk_fma_f32 v[12:13], v[12:13], 0.5, v[14:15] op_sel_hi:[1,0,1] neg_lo:[1,0,0] neg_hi:[1,0,0]
	v_pk_mul_f32 v[22:23], v[22:23], s[16:17] op_sel_hi:[1,0]
	v_pk_add_f32 v[14:15], v[14:15], v[18:19]
	v_pk_add_f32 v[24:25], v[12:13], v[22:23] op_sel:[0,1] op_sel_hi:[1,0] neg_lo:[0,1] neg_hi:[0,1]
	v_pk_add_f32 v[12:13], v[12:13], v[22:23] op_sel:[0,1] op_sel_hi:[1,0]
	v_pk_add_f32 v[14:15], v[14:15], v[20:21]
	v_mov_b32_e32 v18, v12
	v_mov_b32_e32 v19, v25
	;; [unrolled: 1-line block ×3, first 2 shown]
	ds_write2_b64 v60, v[14:15], v[18:19] offset1:10
	ds_write_b64 v60, v[24:25] offset:160
	s_and_saveexec_b64 s[16:17], s[2:3]
	s_cbranch_execz .LBB0_11
; %bb.10:
	v_accvgpr_read_b32 v12, a45
	v_accvgpr_read_b32 v13, a46
	v_mad_legacy_u16 v12, v12, 30, v13
	v_pk_add_f32 v[8:9], v[8:9], v[10:11]
	v_lshlrev_b32_e32 v12, 3, v12
	v_pk_add_f32 v[8:9], v[8:9], v[16:17]
	v_mov_b32_e32 v10, v176
	v_mov_b32_e32 v11, v1
	ds_write2_b64 v12, v[8:9], v[10:11] offset1:10
	v_mov_b32_e32 v8, v0
	v_mov_b32_e32 v9, v177
	ds_write_b64 v12, v[8:9] offset:160
.LBB0_11:
	s_or_b64 exec, exec, s[16:17]
	s_movk_i32 s16, 0x89
	v_mul_lo_u16_sdwa v8, v118, s16 dst_sel:DWORD dst_unused:UNUSED_PAD src0_sel:BYTE_0 src1_sel:DWORD
	v_lshrrev_b16_e32 v20, 12, v8
	v_mul_lo_u16_e32 v8, 30, v20
	v_sub_u16_e32 v8, v118, v8
	v_and_b32_e32 v21, 0xff, v8
	v_lshlrev_b32_e32 v8, 5, v21
	s_waitcnt lgkmcnt(0)
	s_barrier
	global_load_dwordx4 v[186:189], v8, s[0:1] offset:176
	global_load_dwordx4 v[190:193], v8, s[0:1] offset:160
	v_mul_lo_u16_sdwa v8, v170, s16 dst_sel:DWORD dst_unused:UNUSED_PAD src0_sel:BYTE_0 src1_sel:DWORD
	v_lshrrev_b16_e32 v22, 12, v8
	v_mul_lo_u16_e32 v8, 30, v22
	v_sub_u16_e32 v8, v170, v8
	v_and_b32_e32 v23, 0xff, v8
	v_lshlrev_b32_e32 v8, 5, v23
	s_mov_b32 s16, 0x8889
	global_load_dwordx4 v[60:63], v8, s[0:1] offset:176
	global_load_dwordx4 v[194:197], v8, s[0:1] offset:160
	v_mul_u32_u24_sdwa v8, v160, s16 dst_sel:DWORD dst_unused:UNUSED_PAD src0_sel:WORD_0 src1_sel:DWORD
	v_lshrrev_b32_e32 v24, 20, v8
	v_mul_lo_u16_e32 v8, 30, v24
	v_sub_u16_e32 v25, v160, v8
	v_lshlrev_b16_e32 v12, 5, v25
	v_mov_b32_e32 v13, 0
	v_lshl_add_u64 v[8:9], s[0:1], 0, v[12:13]
	global_load_dwordx4 v[142:145], v[8:9], off offset:176
	global_load_dwordx4 v[64:67], v[8:9], off offset:160
	v_mul_u32_u24_sdwa v8, v174, s16 dst_sel:DWORD dst_unused:UNUSED_PAD src0_sel:WORD_0 src1_sel:DWORD
	v_lshrrev_b32_e32 v26, 20, v8
	v_mul_lo_u16_e32 v8, 30, v26
	v_sub_u16_e32 v27, v174, v8
	v_lshlrev_b16_e32 v12, 5, v27
	v_lshl_add_u64 v[8:9], s[0:1], 0, v[12:13]
	global_load_dwordx4 v[68:71], v[8:9], off offset:176
	global_load_dwordx4 v[72:75], v[8:9], off offset:160
	v_mul_u32_u24_sdwa v8, v172, s16 dst_sel:DWORD dst_unused:UNUSED_PAD src0_sel:WORD_0 src1_sel:DWORD
	v_lshrrev_b32_e32 v9, 20, v8
	v_mul_lo_u16_e32 v8, 30, v9
	v_sub_u16_e32 v10, v172, v8
	v_lshlrev_b16_e32 v12, 5, v10
	v_lshl_add_u64 v[12:13], s[0:1], 0, v[12:13]
	global_load_dwordx4 v[76:79], v[12:13], off offset:176
	global_load_dwordx4 v[80:83], v[12:13], off offset:160
	v_add_u32_e32 v11, 0x1400, v218
	ds_read2_b64 v[96:99], v11 offset0:80 offset1:170
	v_add_u32_e32 v12, 0x2400, v218
	ds_read2_b64 v[88:91], v12 offset0:108 offset1:198
	v_add_u32_e32 v8, 0x800, v218
	v_add_u32_e32 v12, 0x3000, v218
	ds_read2_b64 v[84:87], v8 offset0:104 offset1:194
	ds_read2_b64 v[92:95], v12 offset0:84 offset1:174
	ds_read_b64 v[14:15], v218 offset:17280
	s_mov_b32 s16, 0x3f737871
	s_mov_b32 s18, 0x3f167918
	v_mul_u32_u24_e32 v13, 0x96, v20
	v_add_u32_e32 v20, 0x2000, v218
	ds_read2_b64 v[124:127], v20 offset0:56 offset1:146
	s_mov_b32 s20, 0x3e9e377a
	v_add_lshl_u32 v131, v13, v21, 3
	v_add_u32_e32 v21, 0x3c00, v218
	ds_read2_b64 v[132:135], v21 offset0:60 offset1:150
	v_mul_u32_u24_e32 v13, 0x96, v22
	v_add_u32_e32 v22, 0x1000, v218
	v_accvgpr_write_b32 a4, v118
	v_accvgpr_write_b32 a5, v119
	;; [unrolled: 1-line block ×3, first 2 shown]
	s_waitcnt vmcnt(9)
	v_accvgpr_write_b32 a48, v186
	s_waitcnt vmcnt(8)
	v_accvgpr_write_b32 a52, v190
	v_accvgpr_write_b32 a49, v187
	;; [unrolled: 1-line block ×7, first 2 shown]
	s_waitcnt vmcnt(6)
	v_accvgpr_write_b32 a60, v194
	v_accvgpr_write_b32 a61, v195
	;; [unrolled: 1-line block ×4, first 2 shown]
	s_waitcnt vmcnt(5)
	v_accvgpr_write_b32 a76, v142
	v_accvgpr_write_b32 a77, v143
	v_accvgpr_write_b32 a78, v144
	v_accvgpr_write_b32 a79, v145
	s_waitcnt vmcnt(0) lgkmcnt(6)
	v_pk_mul_f32 v[16:17], v[98:99], v[80:81] op_sel:[0,1]
	s_nop 0
	v_pk_fma_f32 v[104:105], v[98:99], v[80:81], v[16:17] op_sel:[0,0,1] op_sel_hi:[1,1,0] neg_lo:[0,0,1] neg_hi:[0,0,1]
	v_pk_fma_f32 v[16:17], v[98:99], v[80:81], v[16:17] op_sel:[0,0,1] op_sel_hi:[1,0,0]
	s_nop 0
	v_mov_b32_e32 v16, v83
	v_mov_b32_e32 v105, v17
	s_waitcnt lgkmcnt(5)
	v_pk_mul_f32 v[16:17], v[88:89], v[16:17] op_sel_hi:[1,0]
	s_nop 0
	v_pk_fma_f32 v[106:107], v[88:89], v[82:83], v[16:17] op_sel:[0,0,1] op_sel_hi:[1,1,0] neg_lo:[0,0,1] neg_hi:[0,0,1]
	v_pk_fma_f32 v[16:17], v[88:89], v[82:83], v[16:17] op_sel:[0,0,1] op_sel_hi:[1,0,0]
	s_nop 0
	v_mov_b32_e32 v107, v17
	s_waitcnt lgkmcnt(3)
	v_pk_mul_f32 v[16:17], v[94:95], v[76:77] op_sel:[0,1]
	s_nop 0
	v_pk_fma_f32 v[88:89], v[94:95], v[76:77], v[16:17] op_sel:[0,0,1] op_sel_hi:[1,1,0] neg_lo:[0,0,1] neg_hi:[0,0,1]
	v_pk_fma_f32 v[16:17], v[94:95], v[76:77], v[16:17] op_sel:[0,0,1] op_sel_hi:[1,0,0]
	s_nop 0
	v_mov_b32_e32 v16, v79
	v_mov_b32_e32 v89, v17
	s_waitcnt lgkmcnt(2)
	v_pk_mul_f32 v[16:17], v[14:15], v[16:17] op_sel_hi:[1,0]
	v_pk_add_f32 v[110:111], v[106:107], v[88:89] neg_lo:[0,1] neg_hi:[0,1]
	v_pk_fma_f32 v[108:109], v[14:15], v[78:79], v[16:17] op_sel:[0,0,1] op_sel_hi:[1,1,0] neg_lo:[0,0,1] neg_hi:[0,0,1]
	v_pk_fma_f32 v[14:15], v[14:15], v[78:79], v[16:17] op_sel:[0,0,1] op_sel_hi:[1,0,0]
	v_pk_add_f32 v[16:17], v[104:105], v[106:107] neg_lo:[0,1] neg_hi:[0,1]
	v_mov_b32_e32 v109, v15
	v_pk_add_f32 v[14:15], v[106:107], v[88:89]
	v_pk_add_f32 v[94:95], v[104:105], v[108:109] neg_lo:[0,1] neg_hi:[0,1]
	v_pk_fma_f32 v[14:15], v[14:15], 0.5, v[84:85] op_sel_hi:[1,0,1] neg_lo:[1,0,0] neg_hi:[1,0,0]
	v_pk_add_f32 v[18:19], v[108:109], v[88:89] neg_lo:[0,1] neg_hi:[0,1]
	s_nop 0
	v_pk_add_f32 v[112:113], v[16:17], v[18:19]
	v_pk_fma_f32 v[16:17], v[94:95], s[16:17], v[14:15] op_sel:[1,0,0] op_sel_hi:[0,0,1] neg_lo:[1,0,0] neg_hi:[1,0,0]
	v_pk_fma_f32 v[14:15], v[94:95], s[16:17], v[14:15] op_sel:[1,0,0] op_sel_hi:[0,0,1]
	v_pk_fma_f32 v[114:115], v[110:111], s[18:19], v[14:15] op_sel:[1,0,0] op_sel_hi:[0,0,1]
	v_pk_fma_f32 v[116:117], v[110:111], s[18:19], v[16:17] op_sel:[1,0,0] op_sel_hi:[0,0,1] neg_lo:[1,0,0] neg_hi:[1,0,0]
	v_mov_b32_e32 v14, v116
	v_mov_b32_e32 v15, v115
	v_pk_fma_f32 v[178:179], v[112:113], s[20:21], v[14:15] op_sel_hi:[1,0,1]
	v_pk_mul_f32 v[14:15], v[96:97], v[72:73] op_sel:[0,1]
	v_add_lshl_u32 v115, v13, v23, 3
	v_pk_fma_f32 v[16:17], v[96:97], v[72:73], v[14:15] op_sel:[0,0,1] op_sel_hi:[1,1,0] neg_lo:[0,0,1] neg_hi:[0,0,1]
	v_pk_fma_f32 v[14:15], v[96:97], v[72:73], v[14:15] op_sel:[0,0,1] op_sel_hi:[1,0,0]
	v_add_u32_e32 v23, 0x2800, v218
	v_mov_b32_e32 v14, v75
	v_mov_b32_e32 v17, v15
	s_waitcnt lgkmcnt(1)
	v_pk_mul_f32 v[14:15], v[126:127], v[14:15] op_sel_hi:[1,0]
	ds_read2_b64 v[138:141], v23 offset0:160 offset1:250
	v_pk_fma_f32 v[18:19], v[126:127], v[74:75], v[14:15] op_sel:[0,0,1] op_sel_hi:[1,1,0] neg_lo:[0,0,1] neg_hi:[0,0,1]
	v_pk_fma_f32 v[14:15], v[126:127], v[74:75], v[14:15] op_sel:[0,0,1] op_sel_hi:[1,0,0]
	v_mov_b32_e32 v116, v67
	v_mov_b32_e32 v19, v15
	v_pk_mul_f32 v[14:15], v[92:93], v[68:69] op_sel:[0,1]
	v_pk_add_f32 v[122:123], v[16:17], v[18:19] neg_lo:[0,1] neg_hi:[0,1]
	v_pk_fma_f32 v[96:97], v[92:93], v[68:69], v[14:15] op_sel:[0,0,1] op_sel_hi:[1,1,0] neg_lo:[0,0,1] neg_hi:[0,0,1]
	v_pk_fma_f32 v[14:15], v[92:93], v[68:69], v[14:15] op_sel:[0,0,1] op_sel_hi:[1,0,0]
	s_movk_i32 s17, 0x96
	v_mov_b32_e32 v14, v71
	v_mov_b32_e32 v97, v15
	s_waitcnt lgkmcnt(1)
	v_pk_mul_f32 v[14:15], v[134:135], v[14:15] op_sel_hi:[1,0]
	v_mad_legacy_u16 v13, v24, s17, v25
	v_pk_fma_f32 v[92:93], v[134:135], v[70:71], v[14:15] op_sel:[0,0,1] op_sel_hi:[1,1,0] neg_lo:[0,0,1] neg_hi:[0,0,1]
	v_pk_fma_f32 v[14:15], v[134:135], v[70:71], v[14:15] op_sel:[0,0,1] op_sel_hi:[1,0,0]
	ds_read2_b64 v[134:137], v22 offset0:28 offset1:118
	v_mov_b32_e32 v93, v15
	v_pk_add_f32 v[126:127], v[92:93], v[96:97] neg_lo:[0,1] neg_hi:[0,1]
	v_add_u32_e32 v24, 0x1800, v218
	v_pk_add_f32 v[148:149], v[122:123], v[126:127]
	s_waitcnt lgkmcnt(0)
	v_pk_mul_f32 v[126:127], v[136:137], v[64:65] op_sel:[0,1]
	v_add_u32_e32 v25, 0x3800, v218
	v_pk_fma_f32 v[152:153], v[136:137], v[64:65], v[126:127] op_sel:[0,0,1] op_sel_hi:[1,1,0] neg_lo:[0,0,1] neg_hi:[0,0,1]
	v_pk_fma_f32 v[126:127], v[136:137], v[64:65], v[126:127] op_sel:[0,0,1] op_sel_hi:[1,0,0]
	v_pk_mul_f32 v[180:181], v[134:135], v[194:195] op_sel:[0,1]
	v_mov_b32_e32 v153, v127
	v_pk_mul_f32 v[126:127], v[124:125], v[116:117] op_sel_hi:[1,0]
	v_mov_b32_e32 v116, v145
	v_pk_fma_f32 v[136:137], v[124:125], v[66:67], v[126:127] op_sel:[0,0,1] op_sel_hi:[1,1,0] neg_lo:[0,0,1] neg_hi:[0,0,1]
	v_pk_fma_f32 v[124:125], v[124:125], v[66:67], v[126:127] op_sel:[0,0,1] op_sel_hi:[1,0,0]
	v_pk_fma_f32 v[182:183], v[134:135], v[194:195], v[180:181] op_sel:[0,0,1] op_sel_hi:[1,1,0] neg_lo:[0,0,1] neg_hi:[0,0,1]
	v_mov_b32_e32 v137, v125
	v_pk_mul_f32 v[124:125], v[140:141], v[142:143] op_sel:[0,1]
	v_pk_add_f32 v[126:127], v[152:153], v[136:137] neg_lo:[0,1] neg_hi:[0,1]
	v_pk_fma_f32 v[154:155], v[140:141], v[142:143], v[124:125] op_sel:[0,0,1] op_sel_hi:[1,1,0] neg_lo:[0,0,1] neg_hi:[0,0,1]
	v_pk_fma_f32 v[124:125], v[140:141], v[142:143], v[124:125] op_sel:[0,0,1] op_sel_hi:[1,0,0]
	v_pk_fma_f32 v[134:135], v[134:135], v[194:195], v[180:181] op_sel:[0,0,1] op_sel_hi:[1,0,0]
	v_mov_b32_e32 v155, v125
	v_pk_mul_f32 v[124:125], v[132:133], v[116:117] op_sel_hi:[1,0]
	v_mov_b32_e32 v116, v197
	v_pk_fma_f32 v[156:157], v[132:133], v[144:145], v[124:125] op_sel:[0,0,1] op_sel_hi:[1,1,0] neg_lo:[0,0,1] neg_hi:[0,0,1]
	v_pk_fma_f32 v[124:125], v[132:133], v[144:145], v[124:125] op_sel:[0,0,1] op_sel_hi:[1,0,0]
	ds_read2_b64 v[144:147], v25 offset0:8 offset1:98
	v_mov_b32_e32 v157, v125
	v_pk_add_f32 v[140:141], v[156:157], v[154:155] neg_lo:[0,1] neg_hi:[0,1]
	v_mov_b32_e32 v183, v135
	v_pk_add_f32 v[162:163], v[126:127], v[140:141]
	ds_read2_b64 v[140:143], v24 offset0:132 offset1:222
	v_lshlrev_b32_e32 v103, 3, v13
	v_mad_legacy_u16 v13, v26, s17, v27
	v_lshlrev_b32_e32 v26, 3, v13
	v_add_u32_e32 v13, 0x400, v218
	s_waitcnt lgkmcnt(0)
	v_pk_mul_f32 v[134:135], v[142:143], v[116:117] op_sel_hi:[1,0]
	ds_read2_b64 v[98:101], v13 offset0:52 offset1:142
	v_pk_fma_f32 v[180:181], v[142:143], v[196:197], v[134:135] op_sel:[0,0,1] op_sel_hi:[1,1,0] neg_lo:[0,0,1] neg_hi:[0,0,1]
	v_pk_fma_f32 v[134:135], v[142:143], v[196:197], v[134:135] op_sel:[0,0,1] op_sel_hi:[1,0,0]
	v_mov_b32_e32 v116, v63
	v_mov_b32_e32 v181, v135
	v_pk_mul_f32 v[134:135], v[138:139], v[60:61] op_sel:[0,1]
	v_pk_add_f32 v[124:125], v[136:137], v[154:155]
	v_pk_fma_f32 v[142:143], v[138:139], v[60:61], v[134:135] op_sel:[0,0,1] op_sel_hi:[1,1,0] neg_lo:[0,0,1] neg_hi:[0,0,1]
	v_pk_fma_f32 v[134:135], v[138:139], v[60:61], v[134:135] op_sel:[0,0,1] op_sel_hi:[1,0,0]
	s_waitcnt lgkmcnt(0)
	v_pk_fma_f32 v[124:125], v[124:125], 0.5, v[98:99] op_sel_hi:[1,0,1] neg_lo:[1,0,0] neg_hi:[1,0,0]
	v_mov_b32_e32 v143, v135
	v_pk_mul_f32 v[134:135], v[146:147], v[116:117] op_sel_hi:[1,0]
	v_pk_add_f32 v[132:133], v[152:153], v[156:157] neg_lo:[0,1] neg_hi:[0,1]
	v_pk_fma_f32 v[138:139], v[146:147], v[62:63], v[134:135] op_sel:[0,0,1] op_sel_hi:[1,1,0] neg_lo:[0,0,1] neg_hi:[0,0,1]
	v_pk_fma_f32 v[134:135], v[146:147], v[62:63], v[134:135] op_sel:[0,0,1] op_sel_hi:[1,0,0]
	v_pk_mul_f32 v[146:147], v[86:87], v[190:191] op_sel:[0,1]
	v_pk_add_f32 v[158:159], v[136:137], v[154:155] neg_lo:[0,1] neg_hi:[0,1]
	v_pk_fma_f32 v[184:185], v[86:87], v[190:191], v[146:147] op_sel:[0,0,1] op_sel_hi:[1,1,0] neg_lo:[0,0,1] neg_hi:[0,0,1]
	v_pk_fma_f32 v[86:87], v[86:87], v[190:191], v[146:147] op_sel:[0,0,1] op_sel_hi:[1,0,0]
	v_pk_fma_f32 v[126:127], v[132:133], s[16:17], v[124:125] op_sel:[1,0,0] op_sel_hi:[0,0,1] neg_lo:[1,0,0] neg_hi:[1,0,0]
	v_mov_b32_e32 v86, v193
	v_mov_b32_e32 v185, v87
	v_pk_mul_f32 v[86:87], v[140:141], v[86:87] op_sel_hi:[1,0]
	v_pk_fma_f32 v[124:125], v[132:133], s[16:17], v[124:125] op_sel:[1,0,0] op_sel_hi:[0,0,1]
	v_pk_fma_f32 v[146:147], v[140:141], v[192:193], v[86:87] op_sel:[0,0,1] op_sel_hi:[1,1,0] neg_lo:[0,0,1] neg_hi:[0,0,1]
	v_pk_fma_f32 v[86:87], v[140:141], v[192:193], v[86:87] op_sel:[0,0,1] op_sel_hi:[1,0,0]
	v_pk_fma_f32 v[164:165], v[158:159], s[18:19], v[124:125] op_sel:[1,0,0] op_sel_hi:[0,0,1]
	v_pk_fma_f32 v[166:167], v[158:159], s[18:19], v[126:127] op_sel:[1,0,0] op_sel_hi:[0,0,1] neg_lo:[1,0,0] neg_hi:[1,0,0]
	v_mov_b32_e32 v147, v87
	v_pk_mul_f32 v[86:87], v[90:91], v[186:187] op_sel:[0,1]
	v_mov_b32_e32 v124, v166
	v_mov_b32_e32 v125, v165
	v_pk_fma_f32 v[140:141], v[90:91], v[186:187], v[86:87] op_sel:[0,0,1] op_sel_hi:[1,1,0] neg_lo:[0,0,1] neg_hi:[0,0,1]
	v_pk_fma_f32 v[86:87], v[90:91], v[186:187], v[86:87] op_sel:[0,0,1] op_sel_hi:[1,0,0]
	v_pk_fma_f32 v[168:169], v[162:163], s[20:21], v[124:125] op_sel_hi:[1,0,1]
	ds_read2_b64 v[124:127], v218 offset1:90
	v_mov_b32_e32 v86, v189
	v_mov_b32_e32 v141, v87
	v_pk_mul_f32 v[86:87], v[144:145], v[86:87] op_sel_hi:[1,0]
	v_pk_add_f32 v[190:191], v[146:147], v[140:141] neg_lo:[0,1] neg_hi:[0,1]
	v_pk_fma_f32 v[90:91], v[144:145], v[188:189], v[86:87] op_sel:[0,0,1] op_sel_hi:[1,1,0] neg_lo:[0,0,1] neg_hi:[0,0,1]
	v_pk_fma_f32 v[86:87], v[144:145], v[188:189], v[86:87] op_sel:[0,0,1] op_sel_hi:[1,0,0]
	v_pk_add_f32 v[144:145], v[146:147], v[140:141]
	v_mov_b32_e32 v91, v87
	v_pk_add_f32 v[186:187], v[184:185], v[90:91] neg_lo:[0,1] neg_hi:[0,1]
	s_waitcnt lgkmcnt(0)
	v_pk_fma_f32 v[144:145], v[144:145], 0.5, v[124:125] op_sel_hi:[1,0,1] neg_lo:[1,0,0] neg_hi:[1,0,0]
	v_pk_mul_f32 v[188:189], v[186:187], s[16:17] op_sel_hi:[1,0]
	v_pk_add_f32 v[194:195], v[184:185], v[146:147] neg_lo:[0,1] neg_hi:[0,1]
	v_pk_add_f32 v[196:197], v[90:91], v[140:141] neg_lo:[0,1] neg_hi:[0,1]
	v_pk_add_f32 v[86:87], v[124:125], v[184:185]
	v_pk_mul_f32 v[192:193], v[190:191], s[18:19] op_sel_hi:[1,0]
	v_pk_add_f32 v[194:195], v[194:195], v[196:197]
	v_pk_add_f32 v[196:197], v[144:145], v[188:189] op_sel:[0,1] op_sel_hi:[1,0]
	v_pk_add_f32 v[144:145], v[144:145], v[188:189] op_sel:[0,1] op_sel_hi:[1,0] neg_lo:[0,1] neg_hi:[0,1]
	v_pk_add_f32 v[86:87], v[86:87], v[146:147]
	v_pk_add_f32 v[144:145], v[144:145], v[192:193] op_sel:[0,1] op_sel_hi:[1,0] neg_lo:[0,1] neg_hi:[0,1]
	v_pk_add_f32 v[188:189], v[196:197], v[192:193] op_sel:[0,1] op_sel_hi:[1,0]
	v_pk_add_f32 v[86:87], v[86:87], v[140:141]
	v_mov_b32_e32 v192, v188
	v_mov_b32_e32 v193, v145
	v_pk_add_f32 v[86:87], v[86:87], v[90:91]
	v_pk_fma_f32 v[192:193], v[194:195], s[20:21], v[192:193] op_sel_hi:[1,0,1]
	s_barrier
	ds_write2_b64 v131, v[86:87], v[192:193] offset1:30
	v_pk_add_f32 v[86:87], v[184:185], v[90:91]
	v_pk_add_f32 v[90:91], v[140:141], v[90:91] neg_lo:[0,1] neg_hi:[0,1]
	v_pk_fma_f32 v[86:87], v[86:87], 0.5, v[124:125] op_sel_hi:[1,0,1] neg_lo:[1,0,0] neg_hi:[1,0,0]
	v_pk_add_f32 v[124:125], v[146:147], v[184:185] neg_lo:[0,1] neg_hi:[0,1]
	v_pk_mul_f32 v[140:141], v[186:187], s[18:19] op_sel_hi:[1,0]
	v_pk_add_f32 v[90:91], v[124:125], v[90:91]
	v_pk_mul_f32 v[124:125], v[190:191], s[16:17] op_sel_hi:[1,0]
	v_mov_b32_e32 v145, v189
	v_pk_add_f32 v[146:147], v[86:87], v[124:125] op_sel:[0,1] op_sel_hi:[1,0] neg_lo:[0,1] neg_hi:[0,1]
	v_pk_add_f32 v[86:87], v[86:87], v[124:125] op_sel:[0,1] op_sel_hi:[1,0]
	v_pk_add_f32 v[124:125], v[146:147], v[140:141] op_sel:[0,1] op_sel_hi:[1,0]
	v_pk_add_f32 v[86:87], v[86:87], v[140:141] op_sel:[0,1] op_sel_hi:[1,0] neg_lo:[0,1] neg_hi:[0,1]
	v_mov_b32_e32 v140, v124
	v_mov_b32_e32 v141, v87
	;; [unrolled: 1-line block ×3, first 2 shown]
	v_pk_fma_f32 v[140:141], v[90:91], s[20:21], v[140:141] op_sel_hi:[1,0,1]
	v_pk_fma_f32 v[86:87], v[90:91], s[20:21], v[86:87] op_sel_hi:[1,0,1]
	v_mov_b32_e32 v139, v135
	ds_write2_b64 v131, v[140:141], v[86:87] offset0:60 offset1:90
	v_pk_fma_f32 v[86:87], v[194:195], s[20:21], v[144:145] op_sel_hi:[1,0,1]
	ds_write_b64 v131, v[86:87] offset:960
	v_pk_add_f32 v[86:87], v[180:181], v[142:143]
	v_pk_add_f32 v[90:91], v[182:183], v[138:139] neg_lo:[0,1] neg_hi:[0,1]
	v_pk_fma_f32 v[86:87], v[86:87], 0.5, v[126:127] op_sel_hi:[1,0,1] neg_lo:[1,0,0] neg_hi:[1,0,0]
	v_pk_mul_f32 v[124:125], v[90:91], s[16:17] op_sel_hi:[1,0]
	v_pk_add_f32 v[140:141], v[180:181], v[142:143] neg_lo:[0,1] neg_hi:[0,1]
	v_pk_add_f32 v[146:147], v[182:183], v[180:181] neg_lo:[0,1] neg_hi:[0,1]
	;; [unrolled: 1-line block ×3, first 2 shown]
	v_pk_add_f32 v[134:135], v[126:127], v[182:183]
	v_pk_mul_f32 v[144:145], v[140:141], s[18:19] op_sel_hi:[1,0]
	v_pk_add_f32 v[146:147], v[146:147], v[184:185]
	v_pk_add_f32 v[184:185], v[86:87], v[124:125] op_sel:[0,1] op_sel_hi:[1,0]
	v_pk_add_f32 v[86:87], v[86:87], v[124:125] op_sel:[0,1] op_sel_hi:[1,0] neg_lo:[0,1] neg_hi:[0,1]
	v_pk_add_f32 v[134:135], v[134:135], v[180:181]
	v_pk_add_f32 v[86:87], v[86:87], v[144:145] op_sel:[0,1] op_sel_hi:[1,0] neg_lo:[0,1] neg_hi:[0,1]
	v_pk_add_f32 v[124:125], v[184:185], v[144:145] op_sel:[0,1] op_sel_hi:[1,0]
	v_pk_add_f32 v[134:135], v[134:135], v[142:143]
	v_mov_b32_e32 v144, v124
	v_mov_b32_e32 v145, v87
	v_pk_add_f32 v[134:135], v[134:135], v[138:139]
	v_pk_fma_f32 v[144:145], v[146:147], s[20:21], v[144:145] op_sel_hi:[1,0,1]
	ds_write2_b64 v115, v[134:135], v[144:145] offset1:30
	v_pk_add_f32 v[134:135], v[182:183], v[138:139]
	v_pk_add_f32 v[138:139], v[142:143], v[138:139] neg_lo:[0,1] neg_hi:[0,1]
	v_pk_fma_f32 v[126:127], v[134:135], 0.5, v[126:127] op_sel_hi:[1,0,1] neg_lo:[1,0,0] neg_hi:[1,0,0]
	v_pk_add_f32 v[134:135], v[180:181], v[182:183] neg_lo:[0,1] neg_hi:[0,1]
	v_mov_b32_e32 v87, v125
	v_pk_add_f32 v[134:135], v[134:135], v[138:139]
	v_pk_mul_f32 v[138:139], v[140:141], s[16:17] op_sel_hi:[1,0]
	v_pk_mul_f32 v[90:91], v[90:91], s[18:19] op_sel_hi:[1,0]
	v_pk_add_f32 v[140:141], v[126:127], v[138:139] op_sel:[0,1] op_sel_hi:[1,0] neg_lo:[0,1] neg_hi:[0,1]
	v_pk_add_f32 v[126:127], v[126:127], v[138:139] op_sel:[0,1] op_sel_hi:[1,0]
	v_pk_fma_f32 v[86:87], v[146:147], s[20:21], v[86:87] op_sel_hi:[1,0,1]
	v_pk_add_f32 v[126:127], v[126:127], v[90:91] op_sel:[0,1] op_sel_hi:[1,0] neg_lo:[0,1] neg_hi:[0,1]
	v_pk_add_f32 v[90:91], v[140:141], v[90:91] op_sel:[0,1] op_sel_hi:[1,0]
	ds_write_b64 v115, v[86:87] offset:960
	v_pk_add_f32 v[86:87], v[98:99], v[152:153]
	v_mov_b32_e32 v138, v90
	v_mov_b32_e32 v139, v127
	;; [unrolled: 1-line block ×3, first 2 shown]
	v_pk_add_f32 v[86:87], v[86:87], v[136:137]
	v_pk_fma_f32 v[138:139], v[134:135], s[20:21], v[138:139] op_sel_hi:[1,0,1]
	v_pk_fma_f32 v[90:91], v[134:135], s[20:21], v[126:127] op_sel_hi:[1,0,1]
	v_pk_add_f32 v[86:87], v[86:87], v[154:155]
	v_mov_b32_e32 v165, v167
	ds_write2_b64 v115, v[138:139], v[90:91] offset0:60 offset1:90
	v_pk_add_f32 v[86:87], v[86:87], v[156:157]
	v_pk_fma_f32 v[90:91], v[162:163], s[20:21], v[164:165] op_sel_hi:[1,0,1]
	ds_write2_b64 v103, v[86:87], v[90:91] offset1:30
	v_pk_add_f32 v[86:87], v[152:153], v[156:157]
	v_pk_add_f32 v[90:91], v[136:137], v[152:153] neg_lo:[0,1] neg_hi:[0,1]
	v_pk_fma_f32 v[86:87], v[86:87], 0.5, v[98:99] op_sel_hi:[1,0,1] neg_lo:[1,0,0] neg_hi:[1,0,0]
	v_pk_add_f32 v[98:99], v[154:155], v[156:157] neg_lo:[0,1] neg_hi:[0,1]
	v_pk_add_f32 v[14:15], v[18:19], v[96:97]
	v_pk_add_f32 v[90:91], v[90:91], v[98:99]
	v_pk_fma_f32 v[98:99], v[158:159], s[16:17], v[86:87] op_sel:[1,0,0] op_sel_hi:[0,0,1]
	v_pk_fma_f32 v[86:87], v[158:159], s[16:17], v[86:87] op_sel:[1,0,0] op_sel_hi:[0,0,1] neg_lo:[1,0,0] neg_hi:[1,0,0]
	v_pk_fma_f32 v[86:87], v[132:133], s[18:19], v[86:87] op_sel:[1,0,0] op_sel_hi:[0,0,1]
	v_pk_fma_f32 v[98:99], v[132:133], s[18:19], v[98:99] op_sel:[1,0,0] op_sel_hi:[0,0,1] neg_lo:[1,0,0] neg_hi:[1,0,0]
	v_mov_b32_e32 v124, v98
	v_mov_b32_e32 v125, v87
	;; [unrolled: 1-line block ×3, first 2 shown]
	v_pk_fma_f32 v[14:15], v[14:15], 0.5, v[100:101] op_sel_hi:[1,0,1] neg_lo:[1,0,0] neg_hi:[1,0,0]
	v_pk_add_f32 v[118:119], v[16:17], v[92:93] neg_lo:[0,1] neg_hi:[0,1]
	v_pk_fma_f32 v[124:125], v[90:91], s[20:21], v[124:125] op_sel_hi:[1,0,1]
	v_pk_fma_f32 v[86:87], v[90:91], s[20:21], v[86:87] op_sel_hi:[1,0,1]
	v_pk_add_f32 v[120:121], v[18:19], v[96:97] neg_lo:[0,1] neg_hi:[0,1]
	v_pk_fma_f32 v[122:123], v[118:119], s[16:17], v[14:15] op_sel:[1,0,0] op_sel_hi:[0,0,1] neg_lo:[1,0,0] neg_hi:[1,0,0]
	v_pk_fma_f32 v[14:15], v[118:119], s[16:17], v[14:15] op_sel:[1,0,0] op_sel_hi:[0,0,1]
	ds_write2_b64 v103, v[86:87], v[124:125] offset0:60 offset1:90
	v_pk_add_f32 v[86:87], v[100:101], v[16:17]
	v_pk_fma_f32 v[14:15], v[120:121], s[18:19], v[14:15] op_sel:[1,0,0] op_sel_hi:[0,0,1]
	v_pk_fma_f32 v[150:151], v[120:121], s[18:19], v[122:123] op_sel:[1,0,0] op_sel_hi:[0,0,1] neg_lo:[1,0,0] neg_hi:[1,0,0]
	v_pk_add_f32 v[86:87], v[86:87], v[18:19]
	v_mov_b32_e32 v123, v15
	v_pk_add_f32 v[86:87], v[86:87], v[96:97]
	v_mov_b32_e32 v15, v151
	v_pk_add_f32 v[86:87], v[86:87], v[92:93]
	v_pk_fma_f32 v[14:15], v[148:149], s[20:21], v[14:15] op_sel_hi:[1,0,1]
	ds_write_b64 v103, v[168:169] offset:960
	ds_write2_b64 v26, v[86:87], v[14:15] offset1:30
	v_pk_add_f32 v[14:15], v[16:17], v[92:93]
	v_pk_add_f32 v[16:17], v[18:19], v[16:17] neg_lo:[0,1] neg_hi:[0,1]
	v_pk_fma_f32 v[14:15], v[14:15], 0.5, v[100:101] op_sel_hi:[1,0,1] neg_lo:[1,0,0] neg_hi:[1,0,0]
	v_pk_add_f32 v[18:19], v[96:97], v[92:93] neg_lo:[0,1] neg_hi:[0,1]
	v_mov_b32_e32 v122, v150
	v_pk_add_f32 v[16:17], v[16:17], v[18:19]
	v_pk_fma_f32 v[18:19], v[120:121], s[16:17], v[14:15] op_sel:[1,0,0] op_sel_hi:[0,0,1]
	v_pk_fma_f32 v[14:15], v[120:121], s[16:17], v[14:15] op_sel:[1,0,0] op_sel_hi:[0,0,1] neg_lo:[1,0,0] neg_hi:[1,0,0]
	v_pk_fma_f32 v[14:15], v[118:119], s[18:19], v[14:15] op_sel:[1,0,0] op_sel_hi:[0,0,1]
	v_pk_fma_f32 v[18:19], v[118:119], s[18:19], v[18:19] op_sel:[1,0,0] op_sel_hi:[0,0,1] neg_lo:[1,0,0] neg_hi:[1,0,0]
	v_mov_b32_e32 v86, v18
	v_mov_b32_e32 v87, v15
	;; [unrolled: 1-line block ×3, first 2 shown]
	v_pk_fma_f32 v[86:87], v[16:17], s[20:21], v[86:87] op_sel_hi:[1,0,1]
	v_pk_fma_f32 v[14:15], v[16:17], s[20:21], v[14:15] op_sel_hi:[1,0,1]
	ds_write2_b64 v26, v[14:15], v[86:87] offset0:60 offset1:90
	v_pk_add_f32 v[14:15], v[84:85], v[104:105]
	v_accvgpr_write_b32 a82, v115
	v_pk_add_f32 v[14:15], v[14:15], v[106:107]
	v_mad_legacy_u16 v9, v9, s17, v10
	v_pk_add_f32 v[14:15], v[14:15], v[88:89]
	v_mov_b32_e32 v115, v117
	v_pk_fma_f32 v[122:123], v[148:149], s[20:21], v[122:123] op_sel_hi:[1,0,1]
	v_lshlrev_b32_e32 v9, 3, v9
	v_pk_add_f32 v[14:15], v[14:15], v[108:109]
	v_pk_fma_f32 v[16:17], v[112:113], s[20:21], v[114:115] op_sel_hi:[1,0,1]
	ds_write_b64 v26, v[122:123] offset:960
	ds_write2_b64 v9, v[14:15], v[16:17] offset1:30
	v_pk_add_f32 v[14:15], v[104:105], v[108:109]
	v_pk_add_f32 v[16:17], v[106:107], v[104:105] neg_lo:[0,1] neg_hi:[0,1]
	v_pk_fma_f32 v[14:15], v[14:15], 0.5, v[84:85] op_sel_hi:[1,0,1] neg_lo:[1,0,0] neg_hi:[1,0,0]
	v_pk_add_f32 v[18:19], v[88:89], v[108:109] neg_lo:[0,1] neg_hi:[0,1]
	v_accvgpr_write_b32 a92, v9
	v_pk_add_f32 v[16:17], v[16:17], v[18:19]
	v_pk_fma_f32 v[18:19], v[110:111], s[16:17], v[14:15] op_sel:[1,0,0] op_sel_hi:[0,0,1]
	v_pk_fma_f32 v[14:15], v[110:111], s[16:17], v[14:15] op_sel:[1,0,0] op_sel_hi:[0,0,1] neg_lo:[1,0,0] neg_hi:[1,0,0]
	v_pk_fma_f32 v[14:15], v[94:95], s[18:19], v[14:15] op_sel:[1,0,0] op_sel_hi:[0,0,1]
	v_pk_fma_f32 v[18:19], v[94:95], s[18:19], v[18:19] op_sel:[1,0,0] op_sel_hi:[0,0,1] neg_lo:[1,0,0] neg_hi:[1,0,0]
	v_mov_b32_e32 v84, v18
	v_mov_b32_e32 v85, v15
	;; [unrolled: 1-line block ×3, first 2 shown]
	v_pk_fma_f32 v[84:85], v[16:17], s[20:21], v[84:85] op_sel_hi:[1,0,1]
	v_pk_fma_f32 v[14:15], v[16:17], s[20:21], v[14:15] op_sel_hi:[1,0,1]
	ds_write2_b64 v9, v[14:15], v[84:85] offset0:60 offset1:90
	ds_write_b64 v9, v[178:179] offset:960
	v_add_u32_e32 v9, 0x2c00, v218
	s_waitcnt lgkmcnt(0)
	s_barrier
	ds_read2_b64 v[156:159], v218 offset1:90
	ds_read2_b64 v[166:169], v11 offset0:110 offset1:200
	ds_read2_b64 v[162:165], v9 offset0:92 offset1:182
	;; [unrolled: 1-line block ×11, first 2 shown]
	v_accvgpr_write_b32 a81, v103
	v_accvgpr_write_b32 a80, v26
	s_and_saveexec_b64 s[16:17], s[4:5]
	s_xor_b64 s[16:17], exec, s[16:17]
	s_andn2_saveexec_b64 s[16:17], s[16:17]
	s_cbranch_execz .LBB0_13
; %bb.12:
	ds_read_b64 v[8:9], v218 offset:11760
	ds_read_b64 v[0:1], v218 offset:17760
	;; [unrolled: 1-line block ×3, first 2 shown]
	s_waitcnt lgkmcnt(2)
	v_mov_b32_e32 v176, v8
	s_waitcnt lgkmcnt(1)
	v_mov_b32_e32 v177, v1
	v_mov_b32_e32 v1, v9
.LBB0_13:
	s_or_b64 exec, exec, s[16:17]
	v_lshrrev_b16_e32 v8, 1, v174
	v_accvgpr_read_b32 v183, a5
	v_mul_u32_u24_e32 v8, 0xda75, v8
	v_lshrrev_b16_e32 v10, 1, v172
	v_accvgpr_read_b32 v182, a4
	v_lshrrev_b32_e32 v21, 22, v8
	v_mul_u32_u24_e32 v10, 0xda75, v10
	v_lshrrev_b16_e32 v12, 1, v130
	v_lshlrev_b32_e32 v20, 4, v182
	v_mul_lo_u16_e32 v8, 0x96, v21
	v_lshrrev_b32_e32 v10, 22, v10
	v_mul_u32_u24_e32 v12, 0xda75, v12
	v_lshrrev_b16_e32 v14, 1, v102
	global_load_dwordx4 v[88:91], v20, s[0:1] offset:1120
	v_sub_u16_e32 v22, v174, v8
	v_mul_lo_u16_e32 v10, 0x96, v10
	v_lshrrev_b32_e32 v12, 22, v12
	v_mul_u32_u24_e32 v14, 0xda75, v14
	v_lshrrev_b16_e32 v16, 1, v129
	v_lshlrev_b16_e32 v180, 4, v22
	v_mov_b32_e32 v181, 0
	v_sub_u16_e32 v23, v172, v10
	v_mul_lo_u16_e32 v12, 0x96, v12
	v_lshrrev_b32_e32 v25, 22, v14
	v_mul_u32_u24_e32 v16, 0xda75, v16
	v_lshrrev_b16_e32 v18, 1, v128
	v_lshl_add_u64 v[8:9], s[0:1], 0, v[180:181]
	v_lshlrev_b16_e32 v180, 4, v23
	v_sub_u16_e32 v24, v130, v12
	v_mul_lo_u16_e32 v14, 0x96, v25
	v_lshrrev_b32_e32 v16, 22, v16
	v_mul_u32_u24_e32 v18, 0xda75, v18
	v_lshl_add_u64 v[10:11], s[0:1], 0, v[180:181]
	v_lshlrev_b16_e32 v180, 4, v24
	v_sub_u16_e32 v26, v102, v14
	v_mul_lo_u16_e32 v16, 0x96, v16
	v_lshrrev_b32_e32 v18, 22, v18
	v_lshl_add_u64 v[12:13], s[0:1], 0, v[180:181]
	v_lshlrev_b16_e32 v180, 4, v26
	v_sub_u16_e32 v27, v129, v16
	v_mul_lo_u16_e32 v18, 0x96, v18
	v_lshl_add_u64 v[14:15], s[0:1], 0, v[180:181]
	v_lshlrev_b16_e32 v180, 4, v27
	v_sub_u16_e32 v161, v128, v18
	v_lshl_add_u64 v[16:17], s[0:1], 0, v[180:181]
	v_lshlrev_b16_e32 v180, 4, v161
	s_movk_i32 s16, 0xffc4
	v_lshl_add_u64 v[18:19], s[0:1], 0, v[180:181]
	global_load_dwordx4 v[184:187], v[18:19], off offset:1120
	s_mov_b32 s17, -1
	v_lshl_add_u64 v[18:19], v[182:183], 0, s[16:17]
	v_cmp_gt_u16_e32 vcc, 60, v182
	s_mov_b32 s16, 0x3f5db3d7
	s_waitcnt vmcnt(0)
	v_pk_mul_f32 v[86:87], v[176:177], v[186:187] op_sel:[1,0]
	v_cndmask_b32_e32 v19, v19, v171, vcc
	v_cndmask_b32_e32 v18, v18, v170, vcc
	v_lshl_add_u64 v[84:85], v[18:19], 4, s[0:1]
	global_load_dwordx4 v[104:107], v[84:85], off offset:1120
	global_load_dwordx4 v[100:103], v20, s[0:1] offset:1600
	global_load_dwordx4 v[132:135], v[8:9], off offset:1120
	global_load_dwordx4 v[128:131], v[10:11], off offset:1120
	;; [unrolled: 1-line block ×5, first 2 shown]
	s_waitcnt lgkmcnt(10)
	v_pk_mul_f32 v[8:9], v[166:167], v[88:89] op_sel:[0,1]
	v_mov_b32_e32 v10, v91
	v_pk_fma_f32 v[12:13], v[166:167], v[88:89], v[8:9] op_sel:[0,0,1] op_sel_hi:[1,1,0] neg_lo:[0,0,1] neg_hi:[0,0,1]
	v_pk_fma_f32 v[8:9], v[166:167], v[88:89], v[8:9] op_sel:[0,0,1] op_sel_hi:[1,0,0]
	s_waitcnt lgkmcnt(9)
	v_pk_mul_f32 v[10:11], v[162:163], v[10:11] op_sel_hi:[1,0]
	v_mov_b32_e32 v13, v9
	v_pk_fma_f32 v[8:9], v[162:163], v[90:91], v[10:11] op_sel:[0,0,1] op_sel_hi:[1,1,0] neg_lo:[0,0,1] neg_hi:[0,0,1]
	v_pk_fma_f32 v[10:11], v[162:163], v[90:91], v[10:11] op_sel:[0,0,1] op_sel_hi:[1,0,0]
	v_mov_b32_e32 v20, v182
	v_mov_b32_e32 v9, v11
	v_pk_add_f32 v[10:11], v[156:157], v[12:13]
	v_pk_add_f32 v[14:15], v[12:13], v[8:9]
	v_pk_add_f32 v[12:13], v[12:13], v[8:9] neg_lo:[0,1] neg_hi:[0,1]
	v_pk_add_f32 v[16:17], v[10:11], v[8:9]
	v_pk_fma_f32 v[8:9], v[14:15], 0.5, v[156:157] op_sel_hi:[1,0,1] neg_lo:[1,0,0] neg_hi:[1,0,0]
	v_pk_mul_f32 v[10:11], v[12:13], s[16:17] op_sel_hi:[1,0]
	s_waitcnt lgkmcnt(0)
	v_pk_add_f32 v[12:13], v[8:9], v[10:11] op_sel:[0,1] op_sel_hi:[1,0] neg_lo:[0,1] neg_hi:[0,1]
	v_pk_add_f32 v[14:15], v[8:9], v[10:11] op_sel:[0,1] op_sel_hi:[1,0]
	v_mov_b32_e32 v85, v13
	v_mov_b32_e32 v13, v15
	s_barrier
	ds_write_b64 v218, v[12:13] offset:2400
	v_mov_b32_e32 v12, 0x1c2
	v_cmp_lt_u16_e32 vcc, 59, v20
	v_mov_b32_e32 v84, v14
	ds_write2_b64 v218, v[16:17], v[84:85] offset1:150
	v_cndmask_b32_e32 v12, 0, v12, vcc
	v_add_lshl_u32 v84, v18, v12, 3
	v_pk_mul_f32 v[10:11], v[0:1], v[184:185] op_sel:[1,0]
	v_accvgpr_write_b32 a5, v84
	v_pk_fma_f32 v[8:9], v[176:177], v[184:185], v[10:11] op_sel:[0,0,1] op_sel_hi:[1,1,0] neg_lo:[0,0,1] neg_hi:[0,0,1]
	v_pk_fma_f32 v[156:157], v[176:177], v[184:185], v[10:11] op_sel:[0,0,1] op_sel_hi:[0,1,0]
	v_pk_fma_f32 v[10:11], v[0:1], v[186:187], v[86:87] op_sel:[0,0,1] op_sel_hi:[1,1,0] neg_lo:[0,0,1] neg_hi:[0,0,1]
	v_pk_fma_f32 v[0:1], v[0:1], v[186:187], v[86:87] op_sel:[0,0,1] op_sel_hi:[0,1,0]
	v_mov_b32_e32 v9, v157
	v_mov_b32_e32 v11, v1
	v_pk_add_f32 v[86:87], v[8:9], v[10:11] neg_lo:[0,1] neg_hi:[0,1]
	v_pk_add_f32 v[0:1], v[8:9], v[10:11]
	v_pk_mul_f32 v[86:87], v[86:87], s[16:17] op_sel_hi:[1,0]
	s_movk_i32 s17, 0x1c2
	v_pk_fma_f32 v[0:1], v[0:1], 0.5, v[178:179] op_sel_hi:[1,0,1] neg_lo:[1,0,0] neg_hi:[1,0,0]
	v_accvgpr_write_b32 a84, v184
	v_pk_add_f32 v[156:157], v[0:1], v[86:87] op_sel:[0,1] op_sel_hi:[1,0]
	v_pk_add_f32 v[0:1], v[0:1], v[86:87] op_sel:[0,1] op_sel_hi:[1,0] neg_lo:[0,1] neg_hi:[0,1]
	v_accvgpr_write_b32 a85, v185
	v_accvgpr_write_b32 a86, v186
	;; [unrolled: 1-line block ×3, first 2 shown]
	v_mov_b32_e32 v162, v156
	v_mov_b32_e32 v163, v1
	;; [unrolled: 1-line block ×3, first 2 shown]
	s_waitcnt vmcnt(6)
	v_pk_mul_f32 v[12:13], v[168:169], v[104:105] op_sel:[0,1]
	s_nop 0
	v_pk_fma_f32 v[14:15], v[168:169], v[104:105], v[12:13] op_sel:[0,0,1] op_sel_hi:[1,1,0] neg_lo:[0,0,1] neg_hi:[0,0,1]
	v_pk_fma_f32 v[12:13], v[168:169], v[104:105], v[12:13] op_sel:[0,0,1] op_sel_hi:[1,0,0]
	s_nop 0
	v_mov_b32_e32 v12, v107
	v_mov_b32_e32 v15, v13
	v_pk_mul_f32 v[12:13], v[164:165], v[12:13] op_sel_hi:[1,0]
	s_nop 0
	v_pk_fma_f32 v[16:17], v[164:165], v[106:107], v[12:13] op_sel:[0,0,1] op_sel_hi:[1,1,0] neg_lo:[0,0,1] neg_hi:[0,0,1]
	v_pk_fma_f32 v[12:13], v[164:165], v[106:107], v[12:13] op_sel:[0,0,1] op_sel_hi:[1,0,0]
	s_nop 0
	v_mov_b32_e32 v17, v13
	v_pk_add_f32 v[12:13], v[158:159], v[14:15]
	v_pk_add_f32 v[18:19], v[14:15], v[16:17]
	v_pk_add_f32 v[14:15], v[14:15], v[16:17] neg_lo:[0,1] neg_hi:[0,1]
	v_pk_fma_f32 v[18:19], v[18:19], 0.5, v[158:159] op_sel_hi:[1,0,1] neg_lo:[1,0,0] neg_hi:[1,0,0]
	v_pk_mul_f32 v[14:15], v[14:15], s[16:17] op_sel_hi:[1,0]
	v_pk_add_f32 v[12:13], v[12:13], v[16:17]
	v_pk_add_f32 v[16:17], v[18:19], v[14:15] op_sel:[0,1] op_sel_hi:[1,0]
	v_pk_add_f32 v[14:15], v[18:19], v[14:15] op_sel:[0,1] op_sel_hi:[1,0] neg_lo:[0,1] neg_hi:[0,1]
	v_mov_b32_e32 v18, v16
	v_mov_b32_e32 v19, v15
	ds_write2_b64 v84, v[12:13], v[18:19] offset1:150
	v_mov_b32_e32 v15, v17
	s_waitcnt vmcnt(5)
	v_pk_mul_f32 v[12:13], v[152:153], v[100:101] op_sel:[0,1]
	ds_write_b64 v84, v[14:15] offset:2400
	v_pk_fma_f32 v[14:15], v[152:153], v[100:101], v[12:13] op_sel:[0,0,1] op_sel_hi:[1,1,0] neg_lo:[0,0,1] neg_hi:[0,0,1]
	v_pk_fma_f32 v[12:13], v[152:153], v[100:101], v[12:13] op_sel:[0,0,1] op_sel_hi:[1,0,0]
	s_nop 0
	v_mov_b32_e32 v12, v103
	v_mov_b32_e32 v15, v13
	v_pk_mul_f32 v[12:13], v[148:149], v[12:13] op_sel_hi:[1,0]
	s_nop 0
	v_pk_fma_f32 v[16:17], v[148:149], v[102:103], v[12:13] op_sel:[0,0,1] op_sel_hi:[1,1,0] neg_lo:[0,0,1] neg_hi:[0,0,1]
	v_pk_fma_f32 v[12:13], v[148:149], v[102:103], v[12:13] op_sel:[0,0,1] op_sel_hi:[1,0,0]
	s_nop 0
	v_mov_b32_e32 v17, v13
	v_pk_add_f32 v[12:13], v[14:15], v[16:17]
	v_pk_add_f32 v[18:19], v[14:15], v[16:17] neg_lo:[0,1] neg_hi:[0,1]
	v_pk_fma_f32 v[12:13], v[12:13], 0.5, v[144:145] op_sel_hi:[1,0,1] neg_lo:[1,0,0] neg_hi:[1,0,0]
	v_pk_mul_f32 v[18:19], v[18:19], s[16:17] op_sel_hi:[1,0]
	v_pk_add_f32 v[14:15], v[144:145], v[14:15]
	v_pk_add_f32 v[84:85], v[12:13], v[18:19] op_sel:[0,1] op_sel_hi:[1,0] neg_lo:[0,1] neg_hi:[0,1]
	v_pk_add_f32 v[12:13], v[12:13], v[18:19] op_sel:[0,1] op_sel_hi:[1,0]
	v_pk_add_f32 v[16:17], v[14:15], v[16:17]
	v_mov_b32_e32 v18, v12
	v_mad_legacy_u16 v12, v21, s17, v22
	v_mov_b32_e32 v19, v85
	v_add_u32_e32 v15, 0xc00, v218
	v_mov_b32_e32 v85, v13
	v_lshlrev_b32_e32 v14, 3, v12
	s_waitcnt vmcnt(4)
	v_pk_mul_f32 v[12:13], v[154:155], v[132:133] op_sel:[0,1]
	ds_write2_b64 v15, v[16:17], v[18:19] offset0:96 offset1:246
	v_pk_fma_f32 v[16:17], v[154:155], v[132:133], v[12:13] op_sel:[0,0,1] op_sel_hi:[1,1,0] neg_lo:[0,0,1] neg_hi:[0,0,1]
	v_pk_fma_f32 v[12:13], v[154:155], v[132:133], v[12:13] op_sel:[0,0,1] op_sel_hi:[1,0,0]
	ds_write_b64 v218, v[84:85] offset:6240
	v_mov_b32_e32 v12, v135
	v_mov_b32_e32 v17, v13
	v_pk_mul_f32 v[12:13], v[150:151], v[12:13] op_sel_hi:[1,0]
	v_accvgpr_write_b32 a93, v14
	v_pk_fma_f32 v[18:19], v[150:151], v[134:135], v[12:13] op_sel:[0,0,1] op_sel_hi:[1,1,0] neg_lo:[0,0,1] neg_hi:[0,0,1]
	v_pk_fma_f32 v[12:13], v[150:151], v[134:135], v[12:13] op_sel:[0,0,1] op_sel_hi:[1,0,0]
	s_nop 0
	v_mov_b32_e32 v19, v13
	v_pk_add_f32 v[12:13], v[16:17], v[18:19]
	v_pk_add_f32 v[84:85], v[16:17], v[18:19] neg_lo:[0,1] neg_hi:[0,1]
	v_pk_fma_f32 v[12:13], v[12:13], 0.5, v[146:147] op_sel_hi:[1,0,1] neg_lo:[1,0,0] neg_hi:[1,0,0]
	v_pk_mul_f32 v[84:85], v[84:85], s[16:17] op_sel_hi:[1,0]
	v_pk_add_f32 v[16:17], v[146:147], v[16:17]
	v_pk_add_f32 v[86:87], v[12:13], v[84:85] op_sel:[0,1] op_sel_hi:[1,0] neg_lo:[0,1] neg_hi:[0,1]
	v_pk_add_f32 v[12:13], v[12:13], v[84:85] op_sel:[0,1] op_sel_hi:[1,0]
	v_pk_add_f32 v[16:17], v[16:17], v[18:19]
	v_mov_b32_e32 v18, v12
	v_mov_b32_e32 v19, v87
	;; [unrolled: 1-line block ×3, first 2 shown]
	s_waitcnt vmcnt(3)
	v_pk_mul_f32 v[12:13], v[140:141], v[128:129] op_sel:[0,1]
	ds_write2_b64 v14, v[16:17], v[18:19] offset1:150
	v_pk_fma_f32 v[16:17], v[140:141], v[128:129], v[12:13] op_sel:[0,0,1] op_sel_hi:[1,1,0] neg_lo:[0,0,1] neg_hi:[0,0,1]
	v_pk_fma_f32 v[12:13], v[140:141], v[128:129], v[12:13] op_sel:[0,0,1] op_sel_hi:[1,0,0]
	ds_write_b64 v14, v[86:87] offset:2400
	v_mov_b32_e32 v12, v131
	v_mov_b32_e32 v17, v13
	v_pk_mul_f32 v[12:13], v[136:137], v[12:13] op_sel_hi:[1,0]
	v_lshlrev_b32_e32 v14, 3, v23
	v_pk_fma_f32 v[18:19], v[136:137], v[130:131], v[12:13] op_sel:[0,0,1] op_sel_hi:[1,1,0] neg_lo:[0,0,1] neg_hi:[0,0,1]
	v_pk_fma_f32 v[12:13], v[136:137], v[130:131], v[12:13] op_sel:[0,0,1] op_sel_hi:[1,0,0]
	v_accvgpr_write_b32 a98, v14
	v_mov_b32_e32 v19, v13
	v_pk_add_f32 v[12:13], v[16:17], v[18:19]
	v_pk_add_f32 v[84:85], v[16:17], v[18:19] neg_lo:[0,1] neg_hi:[0,1]
	v_pk_fma_f32 v[12:13], v[12:13], 0.5, v[124:125] op_sel_hi:[1,0,1] neg_lo:[1,0,0] neg_hi:[1,0,0]
	v_pk_mul_f32 v[84:85], v[84:85], s[16:17] op_sel_hi:[1,0]
	v_pk_add_f32 v[16:17], v[124:125], v[16:17]
	v_pk_add_f32 v[86:87], v[12:13], v[84:85] op_sel:[0,1] op_sel_hi:[1,0] neg_lo:[0,1] neg_hi:[0,1]
	v_pk_add_f32 v[12:13], v[12:13], v[84:85] op_sel:[0,1] op_sel_hi:[1,0]
	v_pk_add_f32 v[16:17], v[16:17], v[18:19]
	v_mov_b32_e32 v18, v12
	v_mov_b32_e32 v19, v87
	v_add_u32_e32 v12, 0x1c00, v14
	ds_write2_b64 v12, v[16:17], v[18:19] offset0:4 offset1:154
	v_mov_b32_e32 v87, v13
	s_waitcnt vmcnt(2)
	v_pk_mul_f32 v[12:13], v[142:143], v[120:121] op_sel:[0,1]
	ds_write_b64 v14, v[86:87] offset:9600
	v_pk_fma_f32 v[16:17], v[142:143], v[120:121], v[12:13] op_sel:[0,0,1] op_sel_hi:[1,1,0] neg_lo:[0,0,1] neg_hi:[0,0,1]
	v_pk_fma_f32 v[12:13], v[142:143], v[120:121], v[12:13] op_sel:[0,0,1] op_sel_hi:[1,0,0]
	v_lshlrev_b32_e32 v14, 3, v24
	v_mov_b32_e32 v12, v123
	v_mov_b32_e32 v17, v13
	v_pk_mul_f32 v[12:13], v[138:139], v[12:13] op_sel_hi:[1,0]
	v_accvgpr_write_b32 a99, v14
	v_pk_fma_f32 v[18:19], v[138:139], v[122:123], v[12:13] op_sel:[0,0,1] op_sel_hi:[1,1,0] neg_lo:[0,0,1] neg_hi:[0,0,1]
	v_pk_fma_f32 v[12:13], v[138:139], v[122:123], v[12:13] op_sel:[0,0,1] op_sel_hi:[1,0,0]
	s_nop 0
	v_mov_b32_e32 v19, v13
	v_pk_add_f32 v[12:13], v[16:17], v[18:19]
	v_pk_add_f32 v[84:85], v[16:17], v[18:19] neg_lo:[0,1] neg_hi:[0,1]
	v_pk_fma_f32 v[12:13], v[12:13], 0.5, v[126:127] op_sel_hi:[1,0,1] neg_lo:[1,0,0] neg_hi:[1,0,0]
	v_pk_mul_f32 v[84:85], v[84:85], s[16:17] op_sel_hi:[1,0]
	v_pk_add_f32 v[16:17], v[126:127], v[16:17]
	v_pk_add_f32 v[86:87], v[12:13], v[84:85] op_sel:[0,1] op_sel_hi:[1,0] neg_lo:[0,1] neg_hi:[0,1]
	v_pk_add_f32 v[12:13], v[12:13], v[84:85] op_sel:[0,1] op_sel_hi:[1,0]
	v_pk_add_f32 v[16:17], v[16:17], v[18:19]
	v_mov_b32_e32 v18, v12
	v_mov_b32_e32 v19, v87
	v_add_u32_e32 v12, 0x2800, v14
	ds_write2_b64 v12, v[16:17], v[18:19] offset0:70 offset1:220
	v_mov_b32_e32 v87, v13
	v_mad_legacy_u16 v12, v25, s17, v26
	ds_write_b64 v14, v[86:87] offset:13200
	v_lshlrev_b32_e32 v14, 3, v12
	s_waitcnt vmcnt(1)
	v_pk_mul_f32 v[12:13], v[108:109], v[116:117] op_sel:[0,1]
	v_accvgpr_write_b32 a100, v14
	v_pk_fma_f32 v[16:17], v[108:109], v[116:117], v[12:13] op_sel:[0,0,1] op_sel_hi:[1,1,0] neg_lo:[0,0,1] neg_hi:[0,0,1]
	v_pk_fma_f32 v[12:13], v[108:109], v[116:117], v[12:13] op_sel:[0,0,1] op_sel_hi:[1,0,0]
	s_nop 0
	v_mov_b32_e32 v12, v119
	v_mov_b32_e32 v17, v13
	v_pk_mul_f32 v[12:13], v[96:97], v[12:13] op_sel_hi:[1,0]
	s_nop 0
	v_pk_fma_f32 v[18:19], v[96:97], v[118:119], v[12:13] op_sel:[0,0,1] op_sel_hi:[1,1,0] neg_lo:[0,0,1] neg_hi:[0,0,1]
	v_pk_fma_f32 v[12:13], v[96:97], v[118:119], v[12:13] op_sel:[0,0,1] op_sel_hi:[1,0,0]
	s_nop 0
	v_mov_b32_e32 v19, v13
	v_pk_add_f32 v[12:13], v[16:17], v[18:19]
	v_pk_add_f32 v[84:85], v[16:17], v[18:19] neg_lo:[0,1] neg_hi:[0,1]
	v_pk_fma_f32 v[12:13], v[12:13], 0.5, v[92:93] op_sel_hi:[1,0,1] neg_lo:[1,0,0] neg_hi:[1,0,0]
	v_pk_mul_f32 v[84:85], v[84:85], s[16:17] op_sel_hi:[1,0]
	v_pk_add_f32 v[16:17], v[92:93], v[16:17]
	v_pk_add_f32 v[86:87], v[12:13], v[84:85] op_sel:[0,1] op_sel_hi:[1,0] neg_lo:[0,1] neg_hi:[0,1]
	v_pk_add_f32 v[12:13], v[12:13], v[84:85] op_sel:[0,1] op_sel_hi:[1,0]
	v_pk_add_f32 v[16:17], v[16:17], v[18:19]
	v_mov_b32_e32 v18, v12
	v_mov_b32_e32 v19, v87
	;; [unrolled: 1-line block ×3, first 2 shown]
	s_waitcnt vmcnt(0)
	v_pk_mul_f32 v[12:13], v[110:111], v[112:113] op_sel:[0,1]
	ds_write2_b64 v14, v[16:17], v[18:19] offset1:150
	v_pk_fma_f32 v[16:17], v[110:111], v[112:113], v[12:13] op_sel:[0,0,1] op_sel_hi:[1,1,0] neg_lo:[0,0,1] neg_hi:[0,0,1]
	v_pk_fma_f32 v[12:13], v[110:111], v[112:113], v[12:13] op_sel:[0,0,1] op_sel_hi:[1,0,0]
	ds_write_b64 v14, v[86:87] offset:2400
	v_mov_b32_e32 v12, v115
	v_mov_b32_e32 v17, v13
	v_pk_mul_f32 v[12:13], v[98:99], v[12:13] op_sel_hi:[1,0]
	v_lshlrev_b32_e32 v14, 3, v27
	v_pk_fma_f32 v[18:19], v[98:99], v[114:115], v[12:13] op_sel:[0,0,1] op_sel_hi:[1,1,0] neg_lo:[0,0,1] neg_hi:[0,0,1]
	v_pk_fma_f32 v[12:13], v[98:99], v[114:115], v[12:13] op_sel:[0,0,1] op_sel_hi:[1,0,0]
	v_accvgpr_write_b32 a102, v14
	v_mov_b32_e32 v19, v13
	v_pk_add_f32 v[12:13], v[16:17], v[18:19]
	v_pk_add_f32 v[84:85], v[16:17], v[18:19] neg_lo:[0,1] neg_hi:[0,1]
	v_pk_fma_f32 v[12:13], v[12:13], 0.5, v[94:95] op_sel_hi:[1,0,1] neg_lo:[1,0,0] neg_hi:[1,0,0]
	v_pk_mul_f32 v[84:85], v[84:85], s[16:17] op_sel_hi:[1,0]
	v_pk_add_f32 v[16:17], v[94:95], v[16:17]
	v_pk_add_f32 v[86:87], v[12:13], v[84:85] op_sel:[0,1] op_sel_hi:[1,0] neg_lo:[0,1] neg_hi:[0,1]
	v_pk_add_f32 v[12:13], v[12:13], v[84:85] op_sel:[0,1] op_sel_hi:[1,0]
	v_pk_add_f32 v[16:17], v[16:17], v[18:19]
	v_mov_b32_e32 v18, v12
	v_mov_b32_e32 v19, v87
	v_add_u32_e32 v12, 0x3800, v14
	ds_write2_b64 v12, v[16:17], v[18:19] offset0:8 offset1:158
	v_lshlrev_b32_e32 v12, 3, v161
	v_mov_b32_e32 v87, v13
	v_accvgpr_write_b32 a101, v12
	ds_write_b64 v14, v[86:87] offset:16800
	s_and_saveexec_b64 s[16:17], s[2:3]
	s_cbranch_execz .LBB0_15
; %bb.14:
	v_pk_add_f32 v[8:9], v[178:179], v[8:9]
	s_nop 0
	v_pk_add_f32 v[8:9], v[8:9], v[10:11]
	v_accvgpr_read_b32 v11, a101
	v_add_u32_e32 v10, 0x3800, v11
	ds_write2_b64 v10, v[8:9], v[162:163] offset0:8 offset1:158
	ds_write_b64 v11, v[0:1] offset:16800
.LBB0_15:
	s_or_b64 exec, exec, s[16:17]
	v_lshlrev_b32_e32 v8, 5, v20
	s_waitcnt lgkmcnt(0)
	s_barrier
	global_load_dwordx4 v[152:155], v8, s[0:1] offset:3536
	global_load_dwordx4 v[156:159], v8, s[0:1] offset:3520
	v_lshlrev_b32_e32 v8, 5, v170
	global_load_dwordx4 v[140:143], v8, s[0:1] offset:3536
	global_load_dwordx4 v[148:151], v8, s[0:1] offset:3520
	v_lshlrev_b32_e32 v8, 5, v160
	global_load_dwordx4 v[108:111], v8, s[0:1] offset:3536
	global_load_dwordx4 v[124:127], v8, s[0:1] offset:3520
	v_lshlrev_b64 v[8:9], 5, v[174:175]
	v_lshl_add_u64 v[8:9], s[0:1], 0, v[8:9]
	global_load_dwordx4 v[92:95], v[8:9], off offset:3536
	global_load_dwordx4 v[96:99], v[8:9], off offset:3520
	v_lshlrev_b64 v[8:9], 5, v[172:173]
	v_lshl_add_u64 v[8:9], s[0:1], 0, v[8:9]
	v_add_u32_e32 v85, 0x1400, v218
	v_lshlrev_b32_e32 v180, 3, v20
	ds_read2_b64 v[172:175], v85 offset0:80 offset1:170
	global_load_dwordx4 v[20:23], v[8:9], off offset:3536
	global_load_dwordx4 v[24:27], v[8:9], off offset:3520
	v_add_u32_e32 v14, 0x2400, v218
	ds_read2_b64 v[176:179], v14 offset0:108 offset1:198
	v_lshl_add_u64 v[202:203], s[14:15], 0, v[180:181]
	v_add_u32_e32 v84, 0x800, v218
	ds_read2_b64 v[182:185], v84 offset0:104 offset1:194
	s_movk_i32 s15, 0x3000
	s_mov_b32 s14, 0x3f737871
	s_mov_b32 s16, 0x3f167918
	;; [unrolled: 1-line block ×3, first 2 shown]
	s_movk_i32 s18, 0x1000
	s_waitcnt vmcnt(1)
	v_accvgpr_write_b32 a91, v23
	s_waitcnt vmcnt(0)
	v_mov_b32_e32 v8, v25
	s_waitcnt lgkmcnt(2)
	v_pk_mul_f32 v[12:13], v[174:175], v[8:9] op_sel:[1,0] op_sel_hi:[0,1]
	v_mov_b32_e32 v8, v27
	s_waitcnt lgkmcnt(1)
	v_pk_mul_f32 v[86:87], v[176:177], v[8:9] op_sel:[1,0] op_sel_hi:[0,1]
	v_add_u32_e32 v8, 0x3000, v218
	v_pk_mul_f32 v[10:11], v[174:175], v[24:25]
	v_pk_mul_f32 v[16:17], v[174:175], v[24:25] op_sel:[1,0] op_sel_hi:[0,1]
	v_pk_mul_f32 v[18:19], v[176:177], v[26:27]
	v_pk_mul_f32 v[136:137], v[176:177], v[26:27] op_sel:[1,0] op_sel_hi:[0,1]
	ds_read2_b64 v[174:177], v8 offset0:84 offset1:174
	v_mov_b32_e32 v9, v20
	v_accvgpr_write_b32 a90, v22
	v_accvgpr_write_b32 a89, v21
	;; [unrolled: 1-line block ×3, first 2 shown]
	s_waitcnt lgkmcnt(0)
	v_pk_mul_f32 v[138:139], v[176:177], v[20:21]
	v_accvgpr_write_b32 a97, v27
	v_mov_b32_e32 v19, v138
	v_mov_b32_e32 v87, v139
	v_pk_add_f32 v[164:165], v[18:19], v[86:87] neg_lo:[0,1] neg_hi:[0,1]
	v_pk_mul_f32 v[18:19], v[176:177], v[8:9]
	v_mov_b32_e32 v9, v176
	v_pk_mul_f32 v[86:87], v[8:9], v[20:21]
	v_mov_b32_e32 v18, v136
	v_mov_b32_e32 v86, v137
	v_pk_add_f32 v[160:161], v[18:19], v[86:87]
	ds_read_b64 v[18:19], v218 offset:17280
	v_mov_b32_e32 v9, v22
	v_mov_b32_e32 v138, v160
	;; [unrolled: 1-line block ×3, first 2 shown]
	v_add_u32_e32 v20, 0x2800, v218
	s_waitcnt lgkmcnt(0)
	v_pk_mul_f32 v[86:87], v[18:19], v[22:23]
	v_pk_mul_f32 v[136:137], v[18:19], v[8:9]
	v_mov_b32_e32 v11, v86
	v_mov_b32_e32 v13, v87
	v_pk_add_f32 v[180:181], v[10:11], v[12:13] neg_lo:[0,1] neg_hi:[0,1]
	v_mov_b32_e32 v9, v18
	v_pk_add_f32 v[10:11], v[180:181], v[164:165] neg_lo:[0,1] neg_hi:[0,1]
	v_pk_mul_f32 v[18:19], v[8:9], v[22:23]
	v_mov_b32_e32 v12, v11
	v_pk_add_f32 v[168:169], v[10:11], v[12:13]
	v_mov_b32_e32 v10, v181
	v_mov_b32_e32 v136, v16
	;; [unrolled: 1-line block ×3, first 2 shown]
	v_pk_add_f32 v[176:177], v[180:181], v[10:11]
	v_pk_add_f32 v[10:11], v[164:165], v[180:181] neg_lo:[0,1] neg_hi:[0,1]
	v_pk_add_f32 v[166:167], v[136:137], v[18:19]
	v_mov_b32_e32 v12, v11
	v_pk_add_f32 v[170:171], v[10:11], v[12:13]
	v_mov_b32_e32 v9, v160
	v_pk_add_f32 v[10:11], v[166:167], v[160:161] neg_lo:[0,1] neg_hi:[0,1]
	v_pk_add_f32 v[190:191], v[8:9], v[160:161]
	v_mov_b32_e32 v9, v10
	v_pk_add_f32 v[10:11], v[8:9], v[10:11]
	v_mov_b32_e32 v16, v165
	v_mov_b32_e32 v169, v11
	v_pk_add_f32 v[10:11], v[182:183], v[180:181]
	v_pk_add_f32 v[188:189], v[164:165], v[16:17]
	v_mov_b32_e32 v9, v166
	v_pk_add_f32 v[12:13], v[160:161], v[166:167] neg_lo:[0,1] neg_hi:[0,1]
	v_pk_add_f32 v[10:11], v[10:11], v[164:165]
	v_mov_b32_e32 v164, v161
	v_pk_add_f32 v[186:187], v[8:9], v[166:167]
	v_mov_b32_e32 v9, v12
	v_pk_add_f32 v[138:139], v[138:139], v[164:165] neg_lo:[0,1] neg_hi:[0,1]
	v_mov_b32_e32 v164, v183
	v_pk_add_f32 v[12:13], v[8:9], v[12:13]
	v_mov_b32_e32 v189, v191
	v_mov_b32_e32 v86, v166
	;; [unrolled: 1-line block ×4, first 2 shown]
	v_pk_add_f32 v[164:165], v[164:165], v[166:167]
	v_mov_b32_e32 v171, v13
	v_mov_b32_e32 v17, v161
	v_pk_fma_f32 v[12:13], v[188:189], 0.5, v[182:183] op_sel_hi:[1,0,1] neg_lo:[1,0,0] neg_hi:[1,0,0]
	v_pk_add_f32 v[86:87], v[86:87], v[180:181] neg_lo:[0,1] neg_hi:[0,1]
	v_mov_b32_e32 v177, v187
	v_pk_add_f32 v[160:161], v[164:165], v[160:161]
	v_pk_fma_f32 v[136:137], v[86:87], s[14:15], v[12:13] op_sel_hi:[1,0,1] neg_lo:[1,0,0] neg_hi:[1,0,0]
	v_pk_fma_f32 v[144:145], v[176:177], 0.5, v[182:183] op_sel_hi:[1,0,1] neg_lo:[1,0,0] neg_hi:[1,0,0]
	v_pk_fma_f32 v[12:13], v[86:87], s[14:15], v[12:13] op_sel_hi:[1,0,1]
	v_mov_b32_e32 v11, v160
	v_mov_b32_e32 v18, v181
	;; [unrolled: 1-line block ×3, first 2 shown]
	v_pk_fma_f32 v[136:137], v[138:139], s[16:17], v[136:137] op_sel_hi:[1,0,1] neg_lo:[1,0,0] neg_hi:[1,0,0]
	v_pk_fma_f32 v[146:147], v[138:139], s[14:15], v[144:145] op_sel_hi:[1,0,1] neg_lo:[1,0,0] neg_hi:[1,0,0]
	v_pk_fma_f32 v[12:13], v[138:139], s[16:17], v[12:13] op_sel_hi:[1,0,1]
	v_pk_fma_f32 v[138:139], v[138:139], s[14:15], v[144:145] op_sel_hi:[1,0,1]
	v_pk_add_f32 v[10:11], v[10:11], v[16:17]
	v_pk_fma_f32 v[138:139], v[86:87], s[16:17], v[138:139] op_sel_hi:[1,0,1] neg_lo:[1,0,0] neg_hi:[1,0,0]
	v_pk_add_f32 v[164:165], v[10:11], v[18:19]
	v_pk_fma_f32 v[10:11], v[86:87], s[16:17], v[146:147] op_sel_hi:[1,0,1]
	v_mov_b32_e32 v167, v137
	v_mov_b32_e32 v137, v13
	;; [unrolled: 1-line block ×4, first 2 shown]
	v_add_u32_e32 v11, 0x1000, v218
	ds_read2_b64 v[16:19], v11 offset0:28 offset1:118
	v_mov_b32_e32 v166, v12
	v_mov_b32_e32 v12, v10
	v_pk_fma_f32 v[166:167], v[168:169], s[0:1], v[166:167] op_sel_hi:[1,0,1]
	v_pk_fma_f32 v[160:161], v[168:169], s[0:1], v[136:137] op_sel_hi:[1,0,1]
	;; [unrolled: 1-line block ×3, first 2 shown]
	v_add_u32_e32 v12, 0x2000, v218
	v_pk_fma_f32 v[170:171], v[170:171], s[0:1], v[138:139] op_sel_hi:[1,0,1]
	ds_read2_b64 v[136:139], v12 offset0:56 offset1:146
	ds_read2_b64 v[144:147], v20 offset0:160 offset1:250
	s_waitcnt lgkmcnt(2)
	v_pk_mul_f32 v[86:87], v[18:19], v[124:125] op_sel:[0,1]
	v_add_u32_e32 v9, 0x3c00, v218
	v_pk_fma_f32 v[176:177], v[18:19], v[124:125], v[86:87] op_sel:[0,0,1] op_sel_hi:[1,1,0] neg_lo:[0,0,1] neg_hi:[0,0,1]
	v_pk_fma_f32 v[18:19], v[18:19], v[124:125], v[86:87] op_sel:[0,0,1] op_sel_hi:[1,0,0]
	ds_read2_b64 v[186:189], v9 offset0:60 offset1:150
	v_mov_b32_e32 v18, v127
	v_mov_b32_e32 v177, v19
	s_waitcnt lgkmcnt(2)
	v_pk_mul_f32 v[18:19], v[136:137], v[18:19] op_sel_hi:[1,0]
	v_add_u32_e32 v13, 0x1800, v218
	v_pk_fma_f32 v[204:205], v[136:137], v[126:127], v[18:19] op_sel:[0,0,1] op_sel_hi:[1,1,0] neg_lo:[0,0,1] neg_hi:[0,0,1]
	v_pk_fma_f32 v[18:19], v[136:137], v[126:127], v[18:19] op_sel:[0,0,1] op_sel_hi:[1,0,0]
	ds_read2_b64 v[194:197], v13 offset0:132 offset1:222
	v_mov_b32_e32 v205, v19
	s_waitcnt lgkmcnt(2)
	v_pk_mul_f32 v[18:19], v[146:147], v[108:109] op_sel:[0,1]
	v_add_u32_e32 v86, 0x3800, v218
	v_pk_fma_f32 v[136:137], v[146:147], v[108:109], v[18:19] op_sel:[0,0,1] op_sel_hi:[1,1,0] neg_lo:[0,0,1] neg_hi:[0,0,1]
	v_pk_fma_f32 v[18:19], v[146:147], v[108:109], v[18:19] op_sel:[0,0,1] op_sel_hi:[1,0,0]
	ds_read2_b64 v[198:201], v86 offset0:8 offset1:98
	v_mov_b32_e32 v18, v111
	v_mov_b32_e32 v137, v19
	s_waitcnt lgkmcnt(2)
	v_pk_mul_f32 v[18:19], v[186:187], v[18:19] op_sel_hi:[1,0]
	ds_read2_b64 v[190:193], v218 offset1:90
	v_pk_fma_f32 v[146:147], v[186:187], v[110:111], v[18:19] op_sel:[0,0,1] op_sel_hi:[1,1,0] neg_lo:[0,0,1] neg_hi:[0,0,1]
	v_pk_fma_f32 v[18:19], v[186:187], v[110:111], v[18:19] op_sel:[0,0,1] op_sel_hi:[1,0,0]
	v_pk_mul_f32 v[186:187], v[184:185], v[156:157] op_sel:[0,1]
	s_movk_i32 s17, 0x2000
	v_pk_fma_f32 v[206:207], v[184:185], v[156:157], v[186:187] op_sel:[0,0,1] op_sel_hi:[1,1,0] neg_lo:[0,0,1] neg_hi:[0,0,1]
	v_pk_fma_f32 v[184:185], v[184:185], v[156:157], v[186:187] op_sel:[0,0,1] op_sel_hi:[1,0,0]
	v_add_u32_e32 v10, 0x400, v218
	v_mov_b32_e32 v184, v159
	v_mov_b32_e32 v207, v185
	s_waitcnt lgkmcnt(2)
	v_pk_mul_f32 v[184:185], v[194:195], v[184:185] op_sel_hi:[1,0]
	ds_read2_b64 v[180:183], v10 offset0:52 offset1:142
	v_pk_fma_f32 v[186:187], v[194:195], v[158:159], v[184:185] op_sel:[0,0,1] op_sel_hi:[1,1,0] neg_lo:[0,0,1] neg_hi:[0,0,1]
	v_pk_fma_f32 v[184:185], v[194:195], v[158:159], v[184:185] op_sel:[0,0,1] op_sel_hi:[1,0,0]
	v_mov_b32_e32 v147, v19
	v_mov_b32_e32 v187, v185
	v_pk_mul_f32 v[184:185], v[178:179], v[152:153] op_sel:[0,1]
	v_pk_add_f32 v[226:227], v[206:207], v[186:187] neg_lo:[0,1] neg_hi:[0,1]
	v_pk_fma_f32 v[194:195], v[178:179], v[152:153], v[184:185] op_sel:[0,0,1] op_sel_hi:[1,1,0] neg_lo:[0,0,1] neg_hi:[0,0,1]
	v_pk_fma_f32 v[178:179], v[178:179], v[152:153], v[184:185] op_sel:[0,0,1] op_sel_hi:[1,0,0]
	s_waitcnt lgkmcnt(0)
	v_pk_add_f32 v[18:19], v[180:181], v[176:177]
	v_mov_b32_e32 v178, v155
	v_mov_b32_e32 v195, v179
	v_pk_mul_f32 v[178:179], v[198:199], v[178:179] op_sel_hi:[1,0]
	v_pk_add_f32 v[216:217], v[186:187], v[194:195] neg_lo:[0,1] neg_hi:[0,1]
	v_pk_fma_f32 v[184:185], v[198:199], v[154:155], v[178:179] op_sel:[0,0,1] op_sel_hi:[1,1,0] neg_lo:[0,0,1] neg_hi:[0,0,1]
	v_pk_fma_f32 v[178:179], v[198:199], v[154:155], v[178:179] op_sel:[0,0,1] op_sel_hi:[1,0,0]
	v_pk_mul_f32 v[198:199], v[172:173], v[96:97] op_sel:[0,1]
	v_mov_b32_e32 v185, v179
	v_pk_fma_f32 v[208:209], v[172:173], v[96:97], v[198:199] op_sel:[0,0,1] op_sel_hi:[1,1,0] neg_lo:[0,0,1] neg_hi:[0,0,1]
	v_pk_fma_f32 v[172:173], v[172:173], v[96:97], v[198:199] op_sel:[0,0,1] op_sel_hi:[1,0,0]
	v_pk_add_f32 v[212:213], v[206:207], v[184:185] neg_lo:[0,1] neg_hi:[0,1]
	v_mov_b32_e32 v172, v99
	v_mov_b32_e32 v209, v173
	v_pk_mul_f32 v[172:173], v[138:139], v[172:173] op_sel_hi:[1,0]
	v_pk_mul_f32 v[214:215], v[212:213], s[14:15] op_sel_hi:[1,0]
	v_pk_fma_f32 v[198:199], v[138:139], v[98:99], v[172:173] op_sel:[0,0,1] op_sel_hi:[1,1,0] neg_lo:[0,0,1] neg_hi:[0,0,1]
	v_pk_fma_f32 v[138:139], v[138:139], v[98:99], v[172:173] op_sel:[0,0,1] op_sel_hi:[1,0,0]
	v_pk_add_f32 v[228:229], v[184:185], v[194:195] neg_lo:[0,1] neg_hi:[0,1]
	v_mov_b32_e32 v199, v139
	v_pk_mul_f32 v[138:139], v[174:175], v[92:93] op_sel:[0,1]
	v_pk_mul_f32 v[224:225], v[216:217], s[16:17] op_sel_hi:[1,0]
	v_pk_fma_f32 v[172:173], v[174:175], v[92:93], v[138:139] op_sel:[0,0,1] op_sel_hi:[1,1,0] neg_lo:[0,0,1] neg_hi:[0,0,1]
	v_pk_fma_f32 v[138:139], v[174:175], v[92:93], v[138:139] op_sel:[0,0,1] op_sel_hi:[1,0,0]
	v_pk_add_f32 v[226:227], v[226:227], v[228:229]
	v_mov_b32_e32 v138, v95
	v_mov_b32_e32 v173, v139
	v_pk_mul_f32 v[138:139], v[188:189], v[138:139] op_sel_hi:[1,0]
	v_pk_add_f32 v[178:179], v[190:191], v[206:207]
	v_pk_fma_f32 v[174:175], v[188:189], v[94:95], v[138:139] op_sel:[0,0,1] op_sel_hi:[1,1,0] neg_lo:[0,0,1] neg_hi:[0,0,1]
	v_pk_fma_f32 v[138:139], v[188:189], v[94:95], v[138:139] op_sel:[0,0,1] op_sel_hi:[1,0,0]
	v_pk_mul_f32 v[188:189], v[16:17], v[148:149] op_sel:[0,1]
	v_pk_add_f32 v[178:179], v[178:179], v[186:187]
	v_pk_fma_f32 v[210:211], v[16:17], v[148:149], v[188:189] op_sel:[0,0,1] op_sel_hi:[1,1,0] neg_lo:[0,0,1] neg_hi:[0,0,1]
	v_pk_fma_f32 v[16:17], v[16:17], v[148:149], v[188:189] op_sel:[0,0,1] op_sel_hi:[1,0,0]
	v_pk_add_f32 v[178:179], v[178:179], v[194:195]
	v_mov_b32_e32 v16, v151
	v_mov_b32_e32 v211, v17
	v_pk_mul_f32 v[16:17], v[196:197], v[16:17] op_sel_hi:[1,0]
	v_pk_add_f32 v[178:179], v[178:179], v[184:185]
	v_pk_fma_f32 v[188:189], v[196:197], v[150:151], v[16:17] op_sel:[0,0,1] op_sel_hi:[1,1,0] neg_lo:[0,0,1] neg_hi:[0,0,1]
	v_pk_fma_f32 v[16:17], v[196:197], v[150:151], v[16:17] op_sel:[0,0,1] op_sel_hi:[1,0,0]
	v_pk_add_f32 v[18:19], v[18:19], v[204:205]
	v_mov_b32_e32 v189, v17
	v_pk_mul_f32 v[16:17], v[144:145], v[140:141] op_sel:[0,1]
	v_pk_add_f32 v[18:19], v[18:19], v[136:137]
	v_pk_fma_f32 v[196:197], v[144:145], v[140:141], v[16:17] op_sel:[0,0,1] op_sel_hi:[1,1,0] neg_lo:[0,0,1] neg_hi:[0,0,1]
	v_pk_fma_f32 v[16:17], v[144:145], v[140:141], v[16:17] op_sel:[0,0,1] op_sel_hi:[1,0,0]
	v_mov_b32_e32 v175, v139
	v_mov_b32_e32 v16, v143
	;; [unrolled: 1-line block ×3, first 2 shown]
	v_pk_mul_f32 v[16:17], v[200:201], v[16:17] op_sel_hi:[1,0]
	v_pk_add_f32 v[138:139], v[182:183], v[208:209]
	v_pk_fma_f32 v[144:145], v[200:201], v[142:143], v[16:17] op_sel:[0,0,1] op_sel_hi:[1,1,0] neg_lo:[0,0,1] neg_hi:[0,0,1]
	v_pk_fma_f32 v[16:17], v[200:201], v[142:143], v[16:17] op_sel:[0,0,1] op_sel_hi:[1,0,0]
	v_pk_add_f32 v[200:201], v[186:187], v[194:195]
	v_pk_add_f32 v[186:187], v[186:187], v[206:207] neg_lo:[0,1] neg_hi:[0,1]
	v_pk_fma_f32 v[200:201], v[200:201], 0.5, v[190:191] op_sel_hi:[1,0,1] neg_lo:[1,0,0] neg_hi:[1,0,0]
	v_mov_b32_e32 v145, v17
	v_pk_add_f32 v[228:229], v[200:201], v[214:215] op_sel:[0,1] op_sel_hi:[1,0]
	v_pk_add_f32 v[200:201], v[200:201], v[214:215] op_sel:[0,1] op_sel_hi:[1,0] neg_lo:[0,1] neg_hi:[0,1]
	v_pk_add_f32 v[214:215], v[228:229], v[224:225] op_sel:[0,1] op_sel_hi:[1,0]
	v_pk_add_f32 v[200:201], v[200:201], v[224:225] op_sel:[0,1] op_sel_hi:[1,0] neg_lo:[0,1] neg_hi:[0,1]
	v_mov_b32_e32 v224, v214
	v_mov_b32_e32 v225, v201
	v_pk_fma_f32 v[224:225], v[226:227], s[0:1], v[224:225] op_sel_hi:[1,0,1]
	ds_write_b64 v218, v[224:225] offset:3600
	v_pk_add_f32 v[224:225], v[206:207], v[184:185]
	v_pk_add_f32 v[184:185], v[194:195], v[184:185] neg_lo:[0,1] neg_hi:[0,1]
	v_pk_fma_f32 v[190:191], v[224:225], 0.5, v[190:191] op_sel_hi:[1,0,1] neg_lo:[1,0,0] neg_hi:[1,0,0]
	v_pk_add_f32 v[184:185], v[186:187], v[184:185]
	v_pk_mul_f32 v[186:187], v[216:217], s[14:15] op_sel_hi:[1,0]
	v_pk_mul_f32 v[194:195], v[212:213], s[16:17] op_sel_hi:[1,0]
	v_pk_add_f32 v[206:207], v[190:191], v[186:187] op_sel:[0,1] op_sel_hi:[1,0] neg_lo:[0,1] neg_hi:[0,1]
	v_pk_add_f32 v[186:187], v[190:191], v[186:187] op_sel:[0,1] op_sel_hi:[1,0]
	v_pk_add_f32 v[16:17], v[192:193], v[210:211]
	v_pk_add_f32 v[186:187], v[186:187], v[194:195] op_sel:[0,1] op_sel_hi:[1,0] neg_lo:[0,1] neg_hi:[0,1]
	v_pk_add_f32 v[190:191], v[206:207], v[194:195] op_sel:[0,1] op_sel_hi:[1,0]
	v_pk_add_f32 v[16:17], v[16:17], v[188:189]
	v_mov_b32_e32 v194, v190
	v_mov_b32_e32 v195, v187
	;; [unrolled: 1-line block ×3, first 2 shown]
	v_pk_add_f32 v[16:17], v[16:17], v[196:197]
	v_pk_fma_f32 v[194:195], v[184:185], s[0:1], v[194:195] op_sel_hi:[1,0,1]
	v_pk_fma_f32 v[184:185], v[184:185], s[0:1], v[186:187] op_sel_hi:[1,0,1]
	v_mov_b32_e32 v201, v215
	v_pk_add_f32 v[16:17], v[16:17], v[144:145]
	ds_write_b64 v218, v[184:185] offset:10800
	v_pk_fma_f32 v[184:185], v[226:227], s[0:1], v[200:201] op_sel_hi:[1,0,1]
	ds_write_b64 v218, v[194:195] offset:7200
	ds_write_b64 v218, v[184:185] offset:14400
	ds_write2_b64 v218, v[178:179], v[16:17] offset1:90
	v_pk_add_f32 v[16:17], v[188:189], v[196:197]
	v_pk_add_f32 v[178:179], v[210:211], v[144:145] neg_lo:[0,1] neg_hi:[0,1]
	v_pk_fma_f32 v[16:17], v[16:17], 0.5, v[192:193] op_sel_hi:[1,0,1] neg_lo:[1,0,0] neg_hi:[1,0,0]
	v_pk_mul_f32 v[184:185], v[178:179], s[14:15] op_sel_hi:[1,0]
	v_pk_add_f32 v[186:187], v[188:189], v[196:197] neg_lo:[0,1] neg_hi:[0,1]
	v_pk_add_f32 v[194:195], v[210:211], v[188:189] neg_lo:[0,1] neg_hi:[0,1]
	;; [unrolled: 1-line block ×3, first 2 shown]
	v_pk_mul_f32 v[190:191], v[186:187], s[16:17] op_sel_hi:[1,0]
	v_pk_add_f32 v[194:195], v[194:195], v[200:201]
	v_pk_add_f32 v[200:201], v[16:17], v[184:185] op_sel:[0,1] op_sel_hi:[1,0]
	v_pk_add_f32 v[16:17], v[16:17], v[184:185] op_sel:[0,1] op_sel_hi:[1,0] neg_lo:[0,1] neg_hi:[0,1]
	v_pk_add_f32 v[184:185], v[200:201], v[190:191] op_sel:[0,1] op_sel_hi:[1,0]
	v_pk_add_f32 v[200:201], v[210:211], v[144:145]
	v_pk_add_f32 v[188:189], v[188:189], v[210:211] neg_lo:[0,1] neg_hi:[0,1]
	v_pk_fma_f32 v[192:193], v[200:201], 0.5, v[192:193] op_sel_hi:[1,0,1] neg_lo:[1,0,0] neg_hi:[1,0,0]
	v_pk_add_f32 v[144:145], v[196:197], v[144:145] neg_lo:[0,1] neg_hi:[0,1]
	v_pk_mul_f32 v[186:187], v[186:187], s[14:15] op_sel_hi:[1,0]
	v_pk_add_f32 v[144:145], v[188:189], v[144:145]
	v_pk_mul_f32 v[178:179], v[178:179], s[16:17] op_sel_hi:[1,0]
	v_pk_add_f32 v[188:189], v[192:193], v[186:187] op_sel:[0,1] op_sel_hi:[1,0] neg_lo:[0,1] neg_hi:[0,1]
	v_pk_add_f32 v[186:187], v[192:193], v[186:187] op_sel:[0,1] op_sel_hi:[1,0]
	v_pk_add_f32 v[16:17], v[16:17], v[190:191] op_sel:[0,1] op_sel_hi:[1,0] neg_lo:[0,1] neg_hi:[0,1]
	v_pk_add_f32 v[186:187], v[186:187], v[178:179] op_sel:[0,1] op_sel_hi:[1,0] neg_lo:[0,1] neg_hi:[0,1]
	v_pk_add_f32 v[178:179], v[188:189], v[178:179] op_sel:[0,1] op_sel_hi:[1,0]
	v_mov_b32_e32 v191, v17
	v_mov_b32_e32 v188, v178
	;; [unrolled: 1-line block ×5, first 2 shown]
	v_pk_fma_f32 v[188:189], v[144:145], s[0:1], v[188:189] op_sel_hi:[1,0,1]
	v_pk_fma_f32 v[144:145], v[144:145], s[0:1], v[186:187] op_sel_hi:[1,0,1]
	;; [unrolled: 1-line block ×3, first 2 shown]
	ds_write_b64 v218, v[144:145] offset:11520
	ds_write_b64 v218, v[16:17] offset:15120
	v_pk_add_f32 v[16:17], v[204:205], v[136:137]
	v_pk_add_f32 v[144:145], v[176:177], v[146:147] neg_lo:[0,1] neg_hi:[0,1]
	v_mov_b32_e32 v190, v184
	ds_write_b64 v218, v[188:189] offset:7920
	v_pk_fma_f32 v[16:17], v[16:17], 0.5, v[180:181] op_sel_hi:[1,0,1] neg_lo:[1,0,0] neg_hi:[1,0,0]
	v_pk_mul_f32 v[178:179], v[144:145], s[14:15] op_sel_hi:[1,0]
	v_pk_add_f32 v[184:185], v[204:205], v[136:137] neg_lo:[0,1] neg_hi:[0,1]
	v_pk_add_f32 v[188:189], v[176:177], v[204:205] neg_lo:[0,1] neg_hi:[0,1]
	;; [unrolled: 1-line block ×3, first 2 shown]
	v_pk_mul_f32 v[186:187], v[184:185], s[16:17] op_sel_hi:[1,0]
	v_pk_add_f32 v[188:189], v[188:189], v[192:193]
	v_pk_add_f32 v[192:193], v[16:17], v[178:179] op_sel:[0,1] op_sel_hi:[1,0]
	v_pk_add_f32 v[16:17], v[16:17], v[178:179] op_sel:[0,1] op_sel_hi:[1,0] neg_lo:[0,1] neg_hi:[0,1]
	v_pk_add_f32 v[178:179], v[192:193], v[186:187] op_sel:[0,1] op_sel_hi:[1,0]
	v_pk_add_f32 v[16:17], v[16:17], v[186:187] op_sel:[0,1] op_sel_hi:[1,0] neg_lo:[0,1] neg_hi:[0,1]
	v_mov_b32_e32 v186, v178
	v_mov_b32_e32 v187, v17
	v_pk_fma_f32 v[190:191], v[194:195], s[0:1], v[190:191] op_sel_hi:[1,0,1]
	v_pk_fma_f32 v[186:187], v[188:189], s[0:1], v[186:187] op_sel_hi:[1,0,1]
	ds_write2_b64 v11, v[190:191], v[186:187] offset0:28 offset1:118
	v_pk_add_f32 v[186:187], v[176:177], v[146:147]
	v_pk_add_f32 v[18:19], v[18:19], v[146:147]
	;; [unrolled: 1-line block ×3, first 2 shown]
	v_pk_fma_f32 v[180:181], v[186:187], 0.5, v[180:181] op_sel_hi:[1,0,1] neg_lo:[1,0,0] neg_hi:[1,0,0]
	v_pk_add_f32 v[176:177], v[204:205], v[176:177] neg_lo:[0,1] neg_hi:[0,1]
	v_pk_add_f32 v[136:137], v[136:137], v[146:147] neg_lo:[0,1] neg_hi:[0,1]
	v_pk_mul_f32 v[146:147], v[184:185], s[14:15] op_sel_hi:[1,0]
	v_pk_add_f32 v[138:139], v[138:139], v[172:173]
	v_pk_add_f32 v[136:137], v[176:177], v[136:137]
	v_pk_mul_f32 v[144:145], v[144:145], s[16:17] op_sel_hi:[1,0]
	v_pk_add_f32 v[176:177], v[180:181], v[146:147] op_sel:[0,1] op_sel_hi:[1,0] neg_lo:[0,1] neg_hi:[0,1]
	v_pk_add_f32 v[146:147], v[180:181], v[146:147] op_sel:[0,1] op_sel_hi:[1,0]
	v_pk_add_f32 v[138:139], v[138:139], v[174:175]
	v_pk_add_f32 v[146:147], v[146:147], v[144:145] op_sel:[0,1] op_sel_hi:[1,0] neg_lo:[0,1] neg_hi:[0,1]
	v_pk_add_f32 v[144:145], v[176:177], v[144:145] op_sel:[0,1] op_sel_hi:[1,0]
	v_mov_b32_e32 v177, v147
	v_mov_b32_e32 v176, v144
	;; [unrolled: 1-line block ×3, first 2 shown]
	ds_write2_b64 v10, v[18:19], v[138:139] offset0:52 offset1:142
	v_pk_add_f32 v[18:19], v[198:199], v[172:173]
	v_pk_add_f32 v[138:139], v[208:209], v[174:175] neg_lo:[0,1] neg_hi:[0,1]
	v_pk_fma_f32 v[176:177], v[136:137], s[0:1], v[176:177] op_sel_hi:[1,0,1]
	v_pk_fma_f32 v[136:137], v[136:137], s[0:1], v[146:147] op_sel_hi:[1,0,1]
	v_pk_fma_f32 v[18:19], v[18:19], 0.5, v[182:183] op_sel_hi:[1,0,1] neg_lo:[1,0,0] neg_hi:[1,0,0]
	v_pk_mul_f32 v[144:145], v[138:139], s[14:15] op_sel_hi:[1,0]
	v_pk_add_f32 v[146:147], v[198:199], v[172:173] neg_lo:[0,1] neg_hi:[0,1]
	v_pk_add_f32 v[180:181], v[208:209], v[198:199] neg_lo:[0,1] neg_hi:[0,1]
	;; [unrolled: 1-line block ×3, first 2 shown]
	v_mov_b32_e32 v17, v179
	v_pk_mul_f32 v[178:179], v[146:147], s[16:17] op_sel_hi:[1,0]
	v_pk_add_f32 v[180:181], v[180:181], v[184:185]
	v_pk_add_f32 v[184:185], v[18:19], v[144:145] op_sel:[0,1] op_sel_hi:[1,0]
	v_pk_add_f32 v[18:19], v[18:19], v[144:145] op_sel:[0,1] op_sel_hi:[1,0] neg_lo:[0,1] neg_hi:[0,1]
	v_pk_add_f32 v[144:145], v[184:185], v[178:179] op_sel:[0,1] op_sel_hi:[1,0]
	v_pk_add_f32 v[184:185], v[208:209], v[174:175]
	v_pk_mul_f32 v[146:147], v[146:147], s[14:15] op_sel_hi:[1,0]
	v_pk_fma_f32 v[182:183], v[184:185], 0.5, v[182:183] op_sel_hi:[1,0,1] neg_lo:[1,0,0] neg_hi:[1,0,0]
	v_pk_add_f32 v[172:173], v[172:173], v[174:175] neg_lo:[0,1] neg_hi:[0,1]
	v_pk_mul_f32 v[138:139], v[138:139], s[16:17] op_sel_hi:[1,0]
	v_pk_add_f32 v[174:175], v[182:183], v[146:147] op_sel:[0,1] op_sel_hi:[1,0] neg_lo:[0,1] neg_hi:[0,1]
	v_pk_add_f32 v[146:147], v[182:183], v[146:147] op_sel:[0,1] op_sel_hi:[1,0]
	v_pk_add_f32 v[18:19], v[18:19], v[178:179] op_sel:[0,1] op_sel_hi:[1,0] neg_lo:[0,1] neg_hi:[0,1]
	v_pk_add_f32 v[184:185], v[198:199], v[208:209] neg_lo:[0,1] neg_hi:[0,1]
	v_pk_add_f32 v[146:147], v[146:147], v[138:139] op_sel:[0,1] op_sel_hi:[1,0] neg_lo:[0,1] neg_hi:[0,1]
	v_pk_add_f32 v[138:139], v[174:175], v[138:139] op_sel:[0,1] op_sel_hi:[1,0]
	v_mov_b32_e32 v178, v144
	v_mov_b32_e32 v179, v19
	v_pk_add_f32 v[172:173], v[184:185], v[172:173]
	v_mov_b32_e32 v174, v138
	v_mov_b32_e32 v175, v147
	;; [unrolled: 1-line block ×4, first 2 shown]
	v_pk_fma_f32 v[16:17], v[188:189], s[0:1], v[16:17] op_sel_hi:[1,0,1]
	v_pk_fma_f32 v[178:179], v[180:181], s[0:1], v[178:179] op_sel_hi:[1,0,1]
	v_pk_fma_f32 v[174:175], v[172:173], s[0:1], v[174:175] op_sel_hi:[1,0,1]
	v_pk_fma_f32 v[138:139], v[172:173], s[0:1], v[146:147] op_sel_hi:[1,0,1]
	v_pk_fma_f32 v[18:19], v[180:181], s[0:1], v[18:19] op_sel_hi:[1,0,1]
	s_mov_b64 s[0:1], 0x4650
	v_add_u32_e32 v21, 0x2c00, v218
	v_lshl_add_u64 v[204:205], v[202:203], 0, s[0:1]
	s_movk_i32 s0, 0x4000
	ds_write2_b64 v12, v[176:177], v[174:175] offset0:56 offset1:146
	ds_write2_b64 v21, v[136:137], v[138:139] offset0:122 offset1:212
	;; [unrolled: 1-line block ×3, first 2 shown]
	ds_write_b64 v218, v[164:165] offset:2880
	ds_write2_b64 v85, v[178:179], v[166:167] offset0:80 offset1:170
	ds_write_b64 v218, v[168:169] offset:10080
	ds_write_b64 v218, v[170:171] offset:13680
	;; [unrolled: 1-line block ×3, first 2 shown]
	v_add_co_u32_e32 v16, vcc, s0, v202
	s_waitcnt lgkmcnt(0)
	s_nop 0
	v_addc_co_u32_e32 v17, vcc, 0, v203, vcc
	s_barrier
	global_load_dwordx2 v[16:17], v[16:17], off offset:1616
	ds_read2_b64 v[188:191], v218 offset1:90
	s_movk_i32 s0, 0x5000
	v_accvgpr_write_b32 a96, v26
	v_accvgpr_write_b32 a95, v25
	;; [unrolled: 1-line block ×3, first 2 shown]
	s_waitcnt vmcnt(0) lgkmcnt(0)
	v_mul_f32_e32 v18, v189, v17
	v_mul_f32_e32 v19, v188, v17
	v_fma_f32 v18, v188, v16, -v18
	v_fmac_f32_e32 v19, v189, v16
	global_load_dwordx2 v[16:17], v[204:205], off offset:1800
	ds_write_b64 v218, v[18:19]
	ds_read2_b64 v[176:179], v10 offset0:97 offset1:187
	ds_read2_b64 v[194:197], v15 offset0:66 offset1:156
	;; [unrolled: 1-line block ×5, first 2 shown]
	s_waitcnt vmcnt(0) lgkmcnt(4)
	v_mul_f32_e32 v18, v177, v17
	v_mul_f32_e32 v137, v176, v17
	v_fma_f32 v136, v176, v16, -v18
	v_fmac_f32_e32 v137, v177, v16
	global_load_dwordx2 v[16:17], v[204:205], off offset:3600
	v_add_co_u32_e32 v18, vcc, s0, v202
	s_movk_i32 s0, 0x6000
	s_nop 0
	v_addc_co_u32_e32 v19, vcc, 0, v203, vcc
	v_add_co_u32_e32 v206, vcc, s0, v202
	s_movk_i32 s0, 0x7000
	s_nop 0
	v_addc_co_u32_e32 v207, vcc, 0, v203, vcc
	ds_read2_b64 v[174:177], v8 offset0:39 offset1:129
	s_waitcnt vmcnt(0) lgkmcnt(4)
	v_mul_f32_e32 v15, v195, v17
	v_mul_f32_e32 v139, v194, v17
	v_fma_f32 v138, v194, v16, -v15
	v_fmac_f32_e32 v139, v195, v16
	global_load_dwordx2 v[16:17], v[18:19], off offset:2920
	ds_read2_b64 v[192:195], v20 offset0:70 offset1:160
	s_waitcnt vmcnt(0) lgkmcnt(4)
	v_mul_f32_e32 v15, v187, v17
	v_mul_f32_e32 v145, v186, v17
	v_fma_f32 v144, v186, v16, -v15
	v_fmac_f32_e32 v145, v187, v16
	global_load_dwordx2 v[16:17], v[206:207], off offset:624
	;; [unrolled: 7-line block ×3, first 2 shown]
	s_waitcnt vmcnt(0) lgkmcnt(3)
	v_mul_f32_e32 v15, v181, v17
	v_fma_f32 v198, v180, v16, -v15
	v_mul_f32_e32 v199, v180, v17
	v_add_co_u32_e32 v180, vcc, s0, v202
	v_fmac_f32_e32 v199, v181, v16
	s_nop 0
	v_addc_co_u32_e32 v181, vcc, 0, v203, vcc
	global_load_dwordx2 v[16:17], v[180:181], off offset:128
	global_load_dwordx2 v[172:173], v[180:181], off offset:3728
	s_mov_b32 s0, 0x8000
	s_waitcnt vmcnt(1) lgkmcnt(1)
	v_mul_f32_e32 v15, v193, v17
	v_mul_f32_e32 v209, v192, v17
	v_fma_f32 v208, v192, v16, -v15
	v_fmac_f32_e32 v209, v193, v16
	global_load_dwordx2 v[16:17], v[180:181], off offset:1928
	s_waitcnt vmcnt(0)
	v_mul_f32_e32 v15, v175, v17
	v_fma_f32 v192, v174, v16, -v15
	v_mul_f32_e32 v193, v174, v17
	s_waitcnt lgkmcnt(0)
	v_mul_f32_e32 v15, v185, v173
	v_fmac_f32_e32 v193, v175, v16
	v_fma_f32 v16, v184, v172, -v15
	v_mul_f32_e32 v17, v184, v173
	v_add_co_u32_e32 v184, vcc, s0, v202
	v_fmac_f32_e32 v17, v185, v172
	s_nop 0
	v_addc_co_u32_e32 v185, vcc, 0, v203, vcc
	global_load_dwordx2 v[202:203], v[184:185], off offset:1432
	ds_read2_b64 v[172:175], v9 offset0:105 offset1:195
	s_waitcnt vmcnt(0) lgkmcnt(0)
	v_mul_f32_e32 v15, v173, v203
	v_mul_f32_e32 v211, v172, v203
	v_fma_f32 v210, v172, v202, -v15
	v_fmac_f32_e32 v211, v173, v202
	global_load_dwordx2 v[172:173], v[204:205], off offset:720
	s_waitcnt vmcnt(0)
	v_mul_f32_e32 v15, v191, v173
	v_mul_f32_e32 v203, v190, v173
	v_fma_f32 v202, v190, v172, -v15
	v_fmac_f32_e32 v203, v191, v172
	ds_write2_b64 v218, v[202:203], v[136:137] offset0:90 offset1:225
	global_load_dwordx2 v[136:137], v[204:205], off offset:2520
	s_waitcnt vmcnt(0)
	v_mul_f32_e32 v15, v179, v137
	v_mul_f32_e32 v173, v178, v137
	v_fma_f32 v172, v178, v136, -v15
	v_fmac_f32_e32 v173, v179, v136
	ds_write2_b64 v84, v[172:173], v[138:139] offset0:59 offset1:194
	global_load_dwordx2 v[84:85], v[18:19], off offset:1840
	s_waitcnt vmcnt(0)
	v_mul_f32_e32 v15, v197, v85
	global_load_dwordx2 v[18:19], v[18:19], off offset:3640
	v_fma_f32 v136, v196, v84, -v15
	v_mul_f32_e32 v137, v196, v85
	v_fmac_f32_e32 v137, v197, v84
	ds_write2_b64 v11, v[136:137], v[144:145] offset0:28 offset1:163
	s_waitcnt vmcnt(0)
	v_mul_f32_e32 v15, v189, v19
	v_mul_f32_e32 v85, v188, v19
	v_fma_f32 v84, v188, v18, -v15
	v_fmac_f32_e32 v85, v189, v18
	global_load_dwordx2 v[18:19], v[206:207], off offset:1344
	v_add_u32_e32 v15, 0x1600, v218
	ds_write2_b64 v15, v[84:85], v[146:147] offset0:61 offset1:196
	s_waitcnt vmcnt(0)
	v_mul_f32_e32 v15, v201, v19
	v_mul_f32_e32 v85, v200, v19
	v_fma_f32 v84, v200, v18, -v15
	v_fmac_f32_e32 v85, v201, v18
	global_load_dwordx2 v[18:19], v[206:207], off offset:3144
	v_add_u32_e32 v15, 0x1c00, v218
	ds_write2_b64 v15, v[84:85], v[198:199] offset0:94 offset1:229
	s_waitcnt vmcnt(0)
	v_mul_f32_e32 v15, v183, v19
	v_mul_f32_e32 v85, v182, v19
	v_fma_f32 v84, v182, v18, -v15
	v_fmac_f32_e32 v85, v183, v18
	ds_write2_b64 v14, v[84:85], v[208:209] offset0:63 offset1:198
	global_load_dwordx2 v[14:15], v[180:181], off offset:848
	s_waitcnt vmcnt(0)
	v_mul_f32_e32 v18, v195, v15
	v_mul_f32_e32 v19, v194, v15
	v_fma_f32 v18, v194, v14, -v18
	v_fmac_f32_e32 v19, v195, v14
	global_load_dwordx2 v[14:15], v[180:181], off offset:2648
	ds_write2_b64 v21, v[18:19], v[192:193] offset0:32 offset1:167
	s_waitcnt vmcnt(0)
	v_mul_f32_e32 v18, v177, v15
	v_mul_f32_e32 v19, v176, v15
	v_fma_f32 v18, v176, v14, -v18
	v_fmac_f32_e32 v19, v177, v14
	v_add_u32_e32 v14, 0x3400, v218
	ds_write2_b64 v14, v[18:19], v[16:17] offset0:1 offset1:136
	global_load_dwordx2 v[14:15], v[184:185], off offset:352
	s_waitcnt vmcnt(0)
	v_mul_f32_e32 v16, v187, v15
	v_mul_f32_e32 v17, v186, v15
	v_fma_f32 v16, v186, v14, -v16
	v_fmac_f32_e32 v17, v187, v14
	global_load_dwordx2 v[14:15], v[184:185], off offset:2152
	ds_write2_b64 v86, v[16:17], v[210:211] offset0:98 offset1:233
	s_waitcnt vmcnt(0)
	v_mul_f32_e32 v16, v175, v15
	v_mul_f32_e32 v17, v174, v15
	v_fma_f32 v16, v174, v14, -v16
	v_fmac_f32_e32 v17, v175, v14
	ds_write_b64 v218, v[16:17] offset:16920
	s_and_saveexec_b64 s[0:1], s[6:7]
	s_cbranch_execz .LBB0_17
; %bb.16:
	global_load_dwordx2 v[18:19], v[204:205], off offset:1440
	v_add_u32_e32 v20, 0x500, v218
	ds_read2_b64 v[14:17], v20 offset0:20 offset1:245
	s_waitcnt vmcnt(0) lgkmcnt(0)
	v_mul_f32_e32 v21, v15, v19
	v_mul_f32_e32 v85, v14, v19
	v_fma_f32 v84, v14, v18, -v21
	v_fmac_f32_e32 v85, v15, v18
	global_load_dwordx2 v[14:15], v[204:205], off offset:3240
	s_waitcnt vmcnt(0)
	v_mul_f32_e32 v18, v17, v15
	v_mul_f32_e32 v19, v16, v15
	v_fma_f32 v18, v16, v14, -v18
	v_fmac_f32_e32 v19, v17, v14
	ds_write2_b64 v20, v[84:85], v[18:19] offset0:20 offset1:245
	v_add_co_u32_e32 v18, vcc, s18, v204
	v_add_u32_e32 v20, 0x1300, v218
	s_nop 0
	v_addc_co_u32_e32 v19, vcc, 0, v205, vcc
	global_load_dwordx2 v[84:85], v[18:19], off offset:944
	ds_read2_b64 v[14:17], v20 offset0:22 offset1:247
	s_waitcnt vmcnt(0) lgkmcnt(0)
	v_mul_f32_e32 v21, v15, v85
	v_mul_f32_e32 v87, v14, v85
	v_fma_f32 v86, v14, v84, -v21
	v_fmac_f32_e32 v87, v15, v84
	global_load_dwordx2 v[14:15], v[18:19], off offset:2744
	s_waitcnt vmcnt(0)
	v_mul_f32_e32 v18, v17, v15
	v_mul_f32_e32 v19, v16, v15
	v_fma_f32 v18, v16, v14, -v18
	v_fmac_f32_e32 v19, v17, v14
	ds_write2_b64 v20, v[86:87], v[18:19] offset0:22 offset1:247
	v_add_co_u32_e32 v18, vcc, s17, v204
	v_add_u32_e32 v20, 0x2100, v218
	s_nop 0
	v_addc_co_u32_e32 v19, vcc, 0, v205, vcc
	global_load_dwordx2 v[84:85], v[18:19], off offset:448
	ds_read2_b64 v[14:17], v20 offset0:24 offset1:249
	s_waitcnt vmcnt(0) lgkmcnt(0)
	v_mul_f32_e32 v21, v15, v85
	v_mul_f32_e32 v87, v14, v85
	v_fma_f32 v86, v14, v84, -v21
	v_fmac_f32_e32 v87, v15, v84
	global_load_dwordx2 v[14:15], v[18:19], off offset:2248
	s_waitcnt vmcnt(0)
	v_mul_f32_e32 v21, v17, v15
	global_load_dwordx2 v[18:19], v[18:19], off offset:4048
	v_mul_f32_e32 v85, v16, v15
	v_fma_f32 v84, v16, v14, -v21
	v_fmac_f32_e32 v85, v17, v14
	ds_write2_b64 v20, v[86:87], v[84:85] offset0:24 offset1:249
	v_add_u32_e32 v20, 0x2f00, v218
	ds_read2_b64 v[14:17], v20 offset0:26 offset1:251
	s_waitcnt vmcnt(0) lgkmcnt(0)
	v_mul_f32_e32 v21, v15, v19
	v_mul_f32_e32 v85, v14, v19
	v_fma_f32 v84, v14, v18, -v21
	v_fmac_f32_e32 v85, v15, v18
	v_add_co_u32_e32 v18, vcc, s15, v204
	s_nop 1
	v_addc_co_u32_e32 v19, vcc, 0, v205, vcc
	global_load_dwordx2 v[14:15], v[18:19], off offset:1752
	s_waitcnt vmcnt(0)
	v_mul_f32_e32 v21, v17, v15
	global_load_dwordx2 v[18:19], v[18:19], off offset:3552
	v_mul_f32_e32 v87, v16, v15
	v_fma_f32 v86, v16, v14, -v21
	v_fmac_f32_e32 v87, v17, v14
	ds_write2_b64 v20, v[84:85], v[86:87] offset0:26 offset1:251
	v_add_u32_e32 v20, 0x3d00, v218
	ds_read2_b64 v[14:17], v20 offset0:28 offset1:253
	s_waitcnt vmcnt(0) lgkmcnt(0)
	v_mul_f32_e32 v21, v15, v19
	v_fma_f32 v84, v14, v18, -v21
	v_mul_f32_e32 v85, v14, v19
	v_add_co_u32_e32 v14, vcc, 0x4000, v204
	v_fmac_f32_e32 v85, v15, v18
	s_nop 0
	v_addc_co_u32_e32 v15, vcc, 0, v205, vcc
	global_load_dwordx2 v[14:15], v[14:15], off offset:1256
	s_waitcnt vmcnt(0)
	v_mul_f32_e32 v18, v17, v15
	v_mul_f32_e32 v19, v16, v15
	v_fma_f32 v18, v16, v14, -v18
	v_fmac_f32_e32 v19, v17, v14
	ds_write2_b64 v20, v[84:85], v[18:19] offset0:28 offset1:253
.LBB0_17:
	s_or_b64 exec, exec, s[0:1]
	s_waitcnt lgkmcnt(0)
	s_barrier
	ds_read2_b64 v[178:181], v218 offset1:90
	ds_read2_b64 v[202:205], v10 offset0:97 offset1:187
	v_add_u32_e32 v10, 0xc00, v218
	ds_read2_b64 v[182:185], v10 offset0:66 offset1:156
	ds_read2_b64 v[198:201], v11 offset0:163 offset1:253
	;; [unrolled: 1-line block ×4, first 2 shown]
	v_add_u32_e32 v10, 0x2800, v218
	ds_read2_b64 v[190:193], v10 offset0:70 offset1:160
	ds_read2_b64 v[210:213], v8 offset0:39 offset1:129
	v_add_u32_e32 v8, 0x3800, v218
	ds_read2_b64 v[194:197], v8 offset0:8 offset1:98
	ds_read2_b64 v[214:217], v9 offset0:105 offset1:195
	s_and_saveexec_b64 s[0:1], s[6:7]
	s_cbranch_execz .LBB0_19
; %bb.18:
	v_add_u32_e32 v0, 0x500, v218
	ds_read2_b64 v[164:167], v0 offset0:20 offset1:245
	v_add_u32_e32 v0, 0x1300, v218
	ds_read2_b64 v[168:171], v0 offset0:22 offset1:247
	;; [unrolled: 2-line block ×3, first 2 shown]
	v_add_u32_e32 v0, 0x2f00, v218
	v_add_u32_e32 v4, 0x3d00, v218
	ds_read2_b64 v[0:3], v0 offset0:26 offset1:251
	ds_read2_b64 v[4:7], v4 offset0:28 offset1:253
.LBB0_19:
	s_or_b64 exec, exec, s[0:1]
	s_waitcnt lgkmcnt(4)
	v_mov_b32_e32 v14, v206
	s_waitcnt lgkmcnt(2)
	v_mov_b32_e32 v15, v210
	v_mov_b32_e32 v16, v198
	s_waitcnt lgkmcnt(0)
	v_mov_b32_e32 v17, v214
	v_pk_add_f32 v[12:13], v[198:199], v[214:215]
	v_pk_add_f32 v[14:15], v[14:15], v[16:17] neg_lo:[0,1] neg_hi:[0,1]
	v_fma_f32 v20, -0.5, v12, v202
	v_mov_b32_e32 v12, v15
	v_pk_add_f32 v[14:15], v[14:15], v[12:13]
	v_fma_f32 v21, -0.5, v13, v203
	v_mov_b32_e32 v12, v207
	v_mov_b32_e32 v13, v211
	;; [unrolled: 1-line block ×4, first 2 shown]
	v_pk_add_f32 v[12:13], v[12:13], v[16:17] neg_lo:[0,1] neg_hi:[0,1]
	v_pk_add_f32 v[138:139], v[168:169], v[160:161] neg_lo:[0,1] neg_hi:[0,1]
	v_mov_b32_e32 v16, v13
	v_pk_add_f32 v[144:145], v[4:5], v[0:1] neg_lo:[0,1] neg_hi:[0,1]
	s_mov_b32 s15, 0x3f737871
	s_mov_b32 s0, 0x3e9e377a
	v_pk_add_f32 v[12:13], v[12:13], v[16:17]
	v_mov_b32_e32 v16, v208
	v_mov_b32_e32 v17, v212
	;; [unrolled: 1-line block ×4, first 2 shown]
	s_mov_b32 s18, s15
	s_mov_b32 s1, 0x3f167918
	v_pk_add_f32 v[138:139], v[138:139], v[144:145]
	v_pk_add_f32 v[144:145], v[162:163], v[2:3]
	v_pk_add_f32 v[248:249], v[170:171], v[6:7] neg_lo:[0,1] neg_hi:[0,1]
	v_pk_add_f32 v[84:85], v[200:201], v[216:217]
	v_pk_add_f32 v[16:17], v[16:17], v[136:137] neg_lo:[0,1] neg_hi:[0,1]
	s_mov_b32 s20, s1
	v_pk_fma_f32 v[144:145], v[144:145], 0.5, v[166:167] op_sel_hi:[1,0,1] neg_lo:[1,0,0] neg_hi:[1,0,0]
	v_pk_mul_f32 v[174:175], v[248:249], s[18:19] op_sel_hi:[1,0]
	v_pk_add_f32 v[246:247], v[162:163], v[2:3] neg_lo:[0,1] neg_hi:[0,1]
	v_fma_f32 v22, -0.5, v84, v204
	v_mov_b32_e32 v84, v17
	v_pk_add_f32 v[176:177], v[144:145], v[174:175] op_sel:[0,1] op_sel_hi:[1,0]
	v_pk_mul_f32 v[224:225], v[246:247], s[20:21] op_sel_hi:[1,0]
	v_pk_add_f32 v[226:227], v[170:171], v[162:163] neg_lo:[0,1] neg_hi:[0,1]
	v_pk_add_f32 v[228:229], v[6:7], v[2:3] neg_lo:[0,1] neg_hi:[0,1]
	v_pk_add_f32 v[144:145], v[144:145], v[174:175] op_sel:[0,1] op_sel_hi:[1,0] neg_lo:[0,1] neg_hi:[0,1]
	v_pk_add_f32 v[16:17], v[16:17], v[84:85]
	v_fma_f32 v23, -0.5, v85, v205
	v_mov_b32_e32 v84, v209
	v_mov_b32_e32 v85, v213
	;; [unrolled: 1-line block ×4, first 2 shown]
	v_pk_add_f32 v[176:177], v[224:225], v[176:177] op_sel:[1,0] op_sel_hi:[0,1]
	v_pk_add_f32 v[226:227], v[226:227], v[228:229]
	v_pk_add_f32 v[144:145], v[144:145], v[224:225] op_sel:[0,1] op_sel_hi:[1,0] neg_lo:[0,1] neg_hi:[0,1]
	v_pk_add_f32 v[84:85], v[84:85], v[136:137] neg_lo:[0,1] neg_hi:[0,1]
	v_pk_add_f32 v[146:147], v[166:167], v[170:171]
	v_pk_fma_f32 v[228:229], v[226:227], s[0:1], v[176:177] op_sel_hi:[1,0,1]
	v_mov_b32_e32 v176, v144
	v_mov_b32_e32 v136, v85
	v_pk_add_f32 v[172:173], v[164:165], v[168:169]
	v_pk_add_f32 v[146:147], v[146:147], v[162:163]
	v_pk_fma_f32 v[174:175], v[226:227], s[0:1], v[176:177] op_sel_hi:[1,0,1]
	v_pk_add_f32 v[84:85], v[84:85], v[136:137]
	v_pk_add_f32 v[136:137], v[160:161], v[0:1]
	v_pk_add_f32 v[236:237], v[168:169], v[4:5] neg_lo:[0,1] neg_hi:[0,1]
	v_pk_add_f32 v[172:173], v[172:173], v[160:161]
	v_pk_add_f32 v[146:147], v[146:147], v[2:3]
	v_pk_mul_f32 v[176:177], v[174:175], s[20:21] op_sel_hi:[1,0]
	s_mov_b32 s28, 0x3f4f1bbd
	v_pk_add_f32 v[238:239], v[160:161], v[0:1] neg_lo:[0,1] neg_hi:[0,1]
	v_pk_add_f32 v[172:173], v[172:173], v[0:1]
	v_pk_add_f32 v[244:245], v[146:147], v[6:7]
	v_pk_fma_f32 v[136:137], v[136:137], 0.5, v[164:165] op_sel_hi:[1,0,1] neg_lo:[1,0,0] neg_hi:[1,0,0]
	v_pk_mul_f32 v[146:147], v[236:237], s[18:19] op_sel_hi:[1,0]
	v_pk_fma_f32 v[250:251], v[174:175], s[28:29], v[176:177] op_sel:[0,0,1] op_sel_hi:[1,0,0] neg_lo:[0,0,1] neg_hi:[0,0,1]
	v_pk_fma_f32 v[174:175], v[174:175], s[28:29], v[176:177] op_sel:[0,0,1] op_sel_hi:[1,0,0]
	v_pk_add_f32 v[242:243], v[172:173], v[4:5]
	v_pk_mul_f32 v[172:173], v[238:239], s[20:21] op_sel_hi:[1,0]
	v_mov_b32_e32 v251, v175
	v_pk_add_f32 v[174:175], v[136:137], v[146:147] op_sel:[0,1] op_sel_hi:[1,0] neg_lo:[0,1] neg_hi:[0,1]
	v_pk_add_f32 v[136:137], v[136:137], v[146:147] op_sel:[0,1] op_sel_hi:[1,0]
	v_pk_add_f32 v[8:9], v[178:179], v[182:183]
	v_pk_add_f32 v[136:137], v[136:137], v[172:173] op_sel:[0,1] op_sel_hi:[1,0]
	v_pk_add_f32 v[146:147], v[174:175], v[172:173] op_sel:[0,1] op_sel_hi:[1,0] neg_lo:[0,1] neg_hi:[0,1]
	v_pk_fma_f32 v[144:145], v[226:227], s[0:1], v[144:145] op_sel_hi:[1,0,1]
	v_mov_b32_e32 v173, v137
	v_mov_b32_e32 v137, v147
	s_mov_b32 s26, s1
	s_mov_b32 s27, s28
	v_pk_add_f32 v[8:9], v[8:9], v[186:187]
	v_pk_add_f32 v[10:11], v[202:203], v[198:199]
	v_pk_fma_f32 v[234:235], v[138:139], s[0:1], v[136:137] op_sel_hi:[1,0,1]
	s_mov_b32 s22, 0xbf4f1bbd
	s_mov_b32 s23, s1
	v_pk_mul_f32 v[136:137], v[144:145], s[26:27] op_sel:[1,0]
	v_pk_add_f32 v[8:9], v[8:9], v[190:191]
	v_pk_fma_f32 v[240:241], v[228:229], s[22:23], v[136:137] op_sel_hi:[0,1,1] neg_lo:[0,0,1] neg_hi:[0,0,1]
	v_pk_add_f32 v[136:137], v[8:9], v[194:195]
	v_pk_add_f32 v[8:9], v[10:11], v[206:207]
	;; [unrolled: 1-line block ×3, first 2 shown]
	v_pk_add_f32 v[144:145], v[182:183], v[194:195] neg_lo:[0,1] neg_hi:[0,1]
	v_mov_b32_e32 v172, v146
	v_pk_fma_f32 v[10:11], v[10:11], 0.5, v[178:179] op_sel_hi:[1,0,1] neg_lo:[1,0,0] neg_hi:[1,0,0]
	v_pk_mul_f32 v[146:147], v[144:145], s[18:19] op_sel_hi:[1,0]
	v_pk_add_f32 v[224:225], v[186:187], v[190:191] neg_lo:[0,1] neg_hi:[0,1]
	v_pk_add_f32 v[228:229], v[182:183], v[186:187] neg_lo:[0,1] neg_hi:[0,1]
	;; [unrolled: 1-line block ×3, first 2 shown]
	v_pk_mul_f32 v[226:227], v[224:225], s[20:21] op_sel_hi:[1,0]
	v_pk_add_f32 v[228:229], v[228:229], v[230:231]
	v_pk_add_f32 v[230:231], v[10:11], v[146:147] op_sel:[0,1] op_sel_hi:[1,0] neg_lo:[0,1] neg_hi:[0,1]
	v_pk_add_f32 v[10:11], v[10:11], v[146:147] op_sel:[0,1] op_sel_hi:[1,0]
	v_pk_add_f32 v[222:223], v[206:207], v[210:211] neg_lo:[0,1] neg_hi:[0,1]
	v_pk_add_f32 v[146:147], v[10:11], v[226:227] op_sel:[0,1] op_sel_hi:[1,0]
	v_pk_add_f32 v[226:227], v[230:231], v[226:227] op_sel:[0,1] op_sel_hi:[1,0] neg_lo:[0,1] neg_hi:[0,1]
	v_mov_b32_e32 v11, v147
	v_mov_b32_e32 v10, v226
	v_pk_fma_f32 v[230:231], v[228:229], s[0:1], v[10:11] op_sel_hi:[1,0,1]
	v_pk_add_f32 v[10:11], v[206:207], v[210:211]
	v_fmamk_f32 v13, v223, 0x3f737871, v20
	v_pk_fma_f32 v[10:11], v[10:11], 0.5, v[202:203] op_sel_hi:[1,0,1] neg_lo:[1,0,0] neg_hi:[1,0,0]
	v_pk_add_f32 v[202:203], v[198:199], v[214:215] neg_lo:[0,1] neg_hi:[0,1]
	v_pk_mul_f32 v[220:221], v[222:223], s[20:21] op_sel_hi:[1,0]
	v_mov_b32_e32 v15, v203
	v_pk_mul_f32 v[232:233], v[202:203], s[18:19] op_sel_hi:[1,0]
	v_pk_mul_f32 v[14:15], v[14:15], s[0:1]
	v_pk_add_f32 v[254:255], v[10:11], v[232:233] op_sel:[0,1] op_sel_hi:[1,0]
	v_pk_add_f32 v[198:199], v[198:199], v[206:207] neg_lo:[0,1] neg_hi:[0,1]
	v_pk_add_f32 v[206:207], v[214:215], v[210:211] neg_lo:[0,1] neg_hi:[0,1]
	v_sub_f32_e32 v13, v13, v15
	v_fmac_f32_e32 v20, 0xbf737871, v223
	v_pk_add_f32 v[10:11], v[10:11], v[232:233] op_sel:[0,1] op_sel_hi:[1,0] neg_lo:[0,1] neg_hi:[0,1]
	v_pk_add_f32 v[8:9], v[8:9], v[210:211]
	v_pk_add_f32 v[254:255], v[220:221], v[254:255] op_sel:[1,0] op_sel_hi:[0,1]
	v_pk_add_f32 v[198:199], v[198:199], v[206:207]
	v_add_f32_e32 v210, v14, v13
	v_add_f32_e32 v13, v15, v20
	v_pk_add_f32 v[10:11], v[10:11], v[220:221] op_sel:[0,1] op_sel_hi:[1,0] neg_lo:[0,1] neg_hi:[0,1]
	v_pk_fma_f32 v[206:207], v[198:199], s[0:1], v[254:255] op_sel_hi:[1,0,1]
	v_add_f32_e32 v14, v14, v13
	v_mov_b32_e32 v254, v10
	v_mov_b32_e32 v13, v202
	v_pk_fma_f32 v[252:253], v[138:139], s[0:1], v[172:173] op_sel_hi:[1,0,1]
	v_pk_add_f32 v[138:139], v[8:9], v[214:215]
	v_pk_fma_f32 v[214:215], v[198:199], s[0:1], v[254:255] op_sel_hi:[1,0,1]
	v_pk_fma_f32 v[198:199], v[198:199], s[0:1], v[10:11] op_sel_hi:[1,0,1]
	v_fmamk_f32 v15, v222, 0xbf737871, v21
	v_pk_mul_f32 v[10:11], v[12:13], s[0:1]
	v_fmac_f32_e32 v21, 0x3f737871, v222
	v_add_f32_e32 v12, v11, v15
	v_sub_f32_e32 v11, v21, v11
	v_add_f32_e32 v12, v10, v12
	v_add_f32_e32 v202, v10, v11
	v_pk_mul_f32 v[10:11], v[214:215], s[20:21] op_sel_hi:[1,0]
	v_pk_add_f32 v[8:9], v[136:137], v[138:139]
	v_pk_fma_f32 v[220:221], v[214:215], s[28:29], v[10:11] op_sel:[0,0,1] op_sel_hi:[1,0,0] neg_lo:[0,0,1] neg_hi:[0,0,1]
	v_pk_fma_f32 v[10:11], v[214:215], s[28:29], v[10:11] op_sel:[0,0,1] op_sel_hi:[1,0,0]
	v_accvgpr_read_b32 v17, a47
	v_mov_b32_e32 v221, v11
	v_pk_add_f32 v[10:11], v[230:231], v[220:221]
	s_barrier
	ds_write_b128 v17, v[8:11]
	v_pk_add_f32 v[8:9], v[182:183], v[194:195]
	v_pk_add_f32 v[10:11], v[186:187], v[182:183] neg_lo:[0,1] neg_hi:[0,1]
	v_pk_fma_f32 v[8:9], v[8:9], 0.5, v[178:179] op_sel_hi:[1,0,1] neg_lo:[1,0,0] neg_hi:[1,0,0]
	v_pk_add_f32 v[178:179], v[190:191], v[194:195] neg_lo:[0,1] neg_hi:[0,1]
	v_pk_mul_f32 v[144:145], v[144:145], s[20:21] op_sel_hi:[1,0]
	v_pk_add_f32 v[10:11], v[10:11], v[178:179]
	v_pk_mul_f32 v[178:179], v[224:225], s[18:19] op_sel_hi:[1,0]
	s_mov_b32 s16, s15
	v_pk_add_f32 v[182:183], v[8:9], v[178:179] op_sel:[0,1] op_sel_hi:[1,0]
	v_pk_add_f32 v[8:9], v[8:9], v[178:179] op_sel:[0,1] op_sel_hi:[1,0] neg_lo:[0,1] neg_hi:[0,1]
	s_mov_b32 s17, s0
	v_pk_add_f32 v[178:179], v[8:9], v[144:145] op_sel:[0,1] op_sel_hi:[1,0]
	v_pk_add_f32 v[144:145], v[182:183], v[144:145] op_sel:[0,1] op_sel_hi:[1,0] neg_lo:[0,1] neg_hi:[0,1]
	v_mov_b32_e32 v9, v179
	v_mov_b32_e32 v8, v144
	v_pk_fma_f32 v[182:183], v[10:11], s[0:1], v[8:9] op_sel_hi:[1,0,1]
	s_mov_b32 s14, s0
	v_pk_mul_f32 v[8:9], v[12:13], s[16:17] op_sel_hi:[0,1]
	v_pk_fma_f32 v[12:13], v[210:211], s[14:15], v[8:9] neg_lo:[0,0,1] neg_hi:[0,0,1]
	v_pk_fma_f32 v[8:9], v[210:211], s[14:15], v[8:9] op_sel_hi:[0,1,1]
	s_mov_b32 s24, 0xbe9e377a
	s_mov_b32 s25, s15
	v_pk_mul_f32 v[186:187], v[202:203], s[16:17] op_sel_hi:[0,1]
	v_mov_b32_e32 v179, v145
	v_mov_b32_e32 v13, v9
	v_pk_fma_f32 v[14:15], v[14:15], s[24:25], v[186:187] op_sel_hi:[0,1,1] neg_lo:[0,0,1] neg_hi:[0,0,1]
	v_pk_fma_f32 v[144:145], v[10:11], s[0:1], v[178:179] op_sel_hi:[1,0,1]
	v_pk_add_f32 v[8:9], v[182:183], v[12:13]
	v_pk_add_f32 v[10:11], v[144:145], v[14:15]
	ds_write_b128 v17, v[8:11] offset:16
	v_mov_b32_e32 v147, v227
	v_pk_mul_f32 v[8:9], v[198:199], s[26:27] op_sel:[1,0]
	v_pk_fma_f32 v[146:147], v[228:229], s[0:1], v[146:147] op_sel_hi:[1,0,1]
	v_pk_fma_f32 v[178:179], v[206:207], s[22:23], v[8:9] op_sel_hi:[0,1,1] neg_lo:[0,0,1] neg_hi:[0,0,1]
	v_pk_add_f32 v[8:9], v[146:147], v[178:179]
	v_pk_add_f32 v[10:11], v[136:137], v[138:139] neg_lo:[0,1] neg_hi:[0,1]
	ds_write_b128 v17, v[8:11] offset:32
	v_pk_add_f32 v[8:9], v[230:231], v[220:221] neg_lo:[0,1] neg_hi:[0,1]
	v_pk_add_f32 v[10:11], v[182:183], v[12:13] neg_lo:[0,1] neg_hi:[0,1]
	v_pk_add_f32 v[18:19], v[180:181], v[184:185]
	ds_write_b128 v17, v[8:11] offset:48
	v_pk_add_f32 v[8:9], v[144:145], v[14:15] neg_lo:[0,1] neg_hi:[0,1]
	v_pk_add_f32 v[10:11], v[146:147], v[178:179] neg_lo:[0,1] neg_hi:[0,1]
	ds_write_b128 v17, v[8:11] offset:64
	v_pk_add_f32 v[8:9], v[18:19], v[188:189]
	v_pk_add_f32 v[86:87], v[204:205], v[200:201]
	;; [unrolled: 1-line block ×4, first 2 shown]
	v_pk_add_f32 v[18:19], v[184:185], v[196:197] neg_lo:[0,1] neg_hi:[0,1]
	v_pk_add_f32 v[12:13], v[8:9], v[196:197]
	v_pk_add_f32 v[8:9], v[86:87], v[208:209]
	v_pk_fma_f32 v[10:11], v[10:11], 0.5, v[180:181] op_sel_hi:[1,0,1] neg_lo:[1,0,0] neg_hi:[1,0,0]
	v_pk_mul_f32 v[86:87], v[18:19], s[18:19] op_sel_hi:[1,0]
	v_pk_add_f32 v[136:137], v[188:189], v[192:193] neg_lo:[0,1] neg_hi:[0,1]
	v_pk_add_f32 v[144:145], v[184:185], v[188:189] neg_lo:[0,1] neg_hi:[0,1]
	;; [unrolled: 1-line block ×3, first 2 shown]
	v_pk_mul_f32 v[138:139], v[136:137], s[20:21] op_sel_hi:[1,0]
	v_pk_add_f32 v[144:145], v[144:145], v[146:147]
	v_pk_add_f32 v[146:147], v[10:11], v[86:87] op_sel:[0,1] op_sel_hi:[1,0] neg_lo:[0,1] neg_hi:[0,1]
	v_pk_add_f32 v[10:11], v[10:11], v[86:87] op_sel:[0,1] op_sel_hi:[1,0]
	v_pk_add_f32 v[178:179], v[200:201], v[216:217] neg_lo:[0,1] neg_hi:[0,1]
	v_pk_add_f32 v[86:87], v[10:11], v[138:139] op_sel:[0,1] op_sel_hi:[1,0]
	v_pk_add_f32 v[138:139], v[146:147], v[138:139] op_sel:[0,1] op_sel_hi:[1,0] neg_lo:[0,1] neg_hi:[0,1]
	v_mov_b32_e32 v11, v87
	v_mov_b32_e32 v10, v138
	v_pk_fma_f32 v[146:147], v[144:145], s[0:1], v[10:11] op_sel_hi:[1,0,1]
	v_pk_add_f32 v[10:11], v[208:209], v[212:213]
	v_pk_mul_f32 v[182:183], v[178:179], s[18:19] op_sel_hi:[1,0]
	v_pk_fma_f32 v[10:11], v[10:11], 0.5, v[204:205] op_sel_hi:[1,0,1] neg_lo:[1,0,0] neg_hi:[1,0,0]
	v_pk_add_f32 v[190:191], v[208:209], v[212:213] neg_lo:[0,1] neg_hi:[0,1]
	v_pk_add_f32 v[186:187], v[10:11], v[182:183] op_sel:[0,1] op_sel_hi:[1,0]
	v_pk_mul_f32 v[194:195], v[190:191], s[20:21] op_sel_hi:[1,0]
	v_pk_add_f32 v[198:199], v[200:201], v[208:209] neg_lo:[0,1] neg_hi:[0,1]
	v_pk_add_f32 v[200:201], v[216:217], v[212:213] neg_lo:[0,1] neg_hi:[0,1]
	v_mov_b32_e32 v17, v179
	v_pk_add_f32 v[10:11], v[10:11], v[182:183] op_sel:[0,1] op_sel_hi:[1,0] neg_lo:[0,1] neg_hi:[0,1]
	v_pk_add_f32 v[186:187], v[194:195], v[186:187] op_sel:[1,0] op_sel_hi:[0,1]
	v_pk_add_f32 v[198:199], v[198:199], v[200:201]
	v_fmamk_f32 v20, v191, 0x3f737871, v22
	v_pk_mul_f32 v[16:17], v[16:17], s[0:1]
	v_fmac_f32_e32 v22, 0xbf737871, v191
	v_pk_add_f32 v[10:11], v[10:11], v[194:195] op_sel:[0,1] op_sel_hi:[1,0] neg_lo:[0,1] neg_hi:[0,1]
	v_pk_fma_f32 v[200:201], v[198:199], s[0:1], v[186:187] op_sel_hi:[1,0,1]
	v_sub_f32_e32 v20, v20, v17
	v_add_f32_e32 v17, v17, v22
	v_mov_b32_e32 v186, v10
	v_mov_b32_e32 v85, v178
	v_add_f32_e32 v138, v16, v20
	v_add_f32_e32 v16, v16, v17
	v_pk_fma_f32 v[182:183], v[198:199], s[0:1], v[186:187] op_sel_hi:[1,0,1]
	v_pk_fma_f32 v[186:187], v[198:199], s[0:1], v[10:11] op_sel_hi:[1,0,1]
	v_fmamk_f32 v17, v190, 0xbf737871, v23
	v_pk_mul_f32 v[10:11], v[84:85], s[0:1]
	v_fmac_f32_e32 v23, 0x3f737871, v190
	v_add_f32_e32 v17, v11, v17
	v_sub_f32_e32 v11, v23, v11
	v_add_f32_e32 v84, v10, v17
	v_add_f32_e32 v178, v10, v11
	v_pk_mul_f32 v[10:11], v[182:183], s[20:21] op_sel_hi:[1,0]
	v_pk_add_f32 v[8:9], v[8:9], v[212:213]
	v_pk_fma_f32 v[190:191], v[182:183], s[28:29], v[10:11] op_sel:[0,0,1] op_sel_hi:[1,0,0] neg_lo:[0,0,1] neg_hi:[0,0,1]
	v_pk_fma_f32 v[10:11], v[182:183], s[28:29], v[10:11] op_sel:[0,0,1] op_sel_hi:[1,0,0]
	v_pk_add_f32 v[14:15], v[8:9], v[216:217]
	v_mov_b32_e32 v191, v11
	v_pk_add_f32 v[8:9], v[12:13], v[14:15]
	v_pk_add_f32 v[10:11], v[146:147], v[190:191]
	ds_write_b128 v219, v[8:11]
	v_pk_add_f32 v[8:9], v[184:185], v[196:197]
	v_pk_add_f32 v[10:11], v[188:189], v[184:185] neg_lo:[0,1] neg_hi:[0,1]
	v_pk_fma_f32 v[8:9], v[8:9], 0.5, v[180:181] op_sel_hi:[1,0,1] neg_lo:[1,0,0] neg_hi:[1,0,0]
	v_pk_add_f32 v[180:181], v[192:193], v[196:197] neg_lo:[0,1] neg_hi:[0,1]
	v_pk_mul_f32 v[136:137], v[136:137], s[18:19] op_sel_hi:[1,0]
	v_pk_add_f32 v[10:11], v[10:11], v[180:181]
	v_pk_mul_f32 v[18:19], v[18:19], s[20:21] op_sel_hi:[1,0]
	v_pk_add_f32 v[180:181], v[8:9], v[136:137] op_sel:[0,1] op_sel_hi:[1,0]
	v_pk_add_f32 v[8:9], v[8:9], v[136:137] op_sel:[0,1] op_sel_hi:[1,0] neg_lo:[0,1] neg_hi:[0,1]
	v_pk_mul_f32 v[178:179], v[178:179], s[16:17] op_sel_hi:[0,1]
	v_pk_add_f32 v[136:137], v[8:9], v[18:19] op_sel:[0,1] op_sel_hi:[1,0]
	v_pk_add_f32 v[18:19], v[180:181], v[18:19] op_sel:[0,1] op_sel_hi:[1,0] neg_lo:[0,1] neg_hi:[0,1]
	v_mov_b32_e32 v9, v137
	v_mov_b32_e32 v8, v18
	v_pk_fma_f32 v[180:181], v[10:11], s[0:1], v[8:9] op_sel_hi:[1,0,1]
	v_pk_mul_f32 v[8:9], v[84:85], s[16:17] op_sel_hi:[0,1]
	v_pk_fma_f32 v[84:85], v[138:139], s[14:15], v[8:9] neg_lo:[0,0,1] neg_hi:[0,0,1]
	v_pk_fma_f32 v[8:9], v[138:139], s[14:15], v[8:9] op_sel_hi:[0,1,1]
	v_mov_b32_e32 v137, v19
	v_mov_b32_e32 v85, v9
	v_pk_fma_f32 v[16:17], v[16:17], s[24:25], v[178:179] op_sel_hi:[0,1,1] neg_lo:[0,0,1] neg_hi:[0,0,1]
	v_pk_fma_f32 v[18:19], v[10:11], s[0:1], v[136:137] op_sel_hi:[1,0,1]
	v_pk_add_f32 v[8:9], v[180:181], v[84:85]
	v_pk_add_f32 v[10:11], v[18:19], v[16:17]
	ds_write_b128 v219, v[8:11] offset:16
	v_mov_b32_e32 v87, v139
	v_pk_mul_f32 v[8:9], v[186:187], s[26:27] op_sel:[1,0]
	v_pk_fma_f32 v[86:87], v[144:145], s[0:1], v[86:87] op_sel_hi:[1,0,1]
	v_pk_fma_f32 v[136:137], v[200:201], s[22:23], v[8:9] op_sel_hi:[0,1,1] neg_lo:[0,0,1] neg_hi:[0,0,1]
	v_pk_add_f32 v[8:9], v[86:87], v[136:137]
	v_pk_add_f32 v[10:11], v[12:13], v[14:15] neg_lo:[0,1] neg_hi:[0,1]
	ds_write_b128 v219, v[8:11] offset:32
	v_pk_add_f32 v[8:9], v[146:147], v[190:191] neg_lo:[0,1] neg_hi:[0,1]
	v_pk_add_f32 v[10:11], v[180:181], v[84:85] neg_lo:[0,1] neg_hi:[0,1]
	v_pk_add_f32 v[172:173], v[234:235], v[240:241]
	v_pk_add_f32 v[174:175], v[242:243], v[244:245] neg_lo:[0,1] neg_hi:[0,1]
	v_pk_add_f32 v[176:177], v[252:253], v[250:251] neg_lo:[0,1] neg_hi:[0,1]
	ds_write_b128 v219, v[8:11] offset:48
	v_pk_add_f32 v[8:9], v[18:19], v[16:17] neg_lo:[0,1] neg_hi:[0,1]
	v_pk_add_f32 v[10:11], v[86:87], v[136:137] neg_lo:[0,1] neg_hi:[0,1]
	ds_write_b128 v219, v[8:11] offset:64
	s_and_saveexec_b64 s[18:19], s[6:7]
	s_cbranch_execz .LBB0_21
; %bb.20:
	v_mov_b32_e32 v8, v162
	v_mov_b32_e32 v9, v2
	;; [unrolled: 1-line block ×4, first 2 shown]
	v_pk_add_f32 v[8:9], v[8:9], v[10:11] neg_lo:[0,1] neg_hi:[0,1]
	v_pk_add_f32 v[10:11], v[170:171], v[6:7]
	v_mov_b32_e32 v2, v9
	v_pk_add_f32 v[8:9], v[8:9], v[2:3]
	v_fma_f32 v13, -0.5, v10, v166
	v_mov_b32_e32 v9, v249
	v_pk_mul_f32 v[8:9], v[8:9], s[0:1]
	v_fmamk_f32 v2, v247, 0xbf737871, v13
	v_add_f32_e32 v2, v9, v2
	v_add_f32_e32 v10, v8, v2
	v_mov_b32_e32 v2, v163
	v_mov_b32_e32 v6, v171
	v_pk_add_f32 v[2:3], v[2:3], v[6:7] neg_lo:[0,1] neg_hi:[0,1]
	v_fmac_f32_e32 v167, -0.5, v11
	v_mov_b32_e32 v6, v3
	v_pk_add_f32 v[2:3], v[2:3], v[6:7]
	v_fmamk_f32 v6, v246, 0x3f737871, v167
	v_mov_b32_e32 v3, v248
	v_pk_mul_f32 v[2:3], v[2:3], s[0:1]
	v_fmac_f32_e32 v167, 0xbf737871, v246
	v_sub_f32_e32 v6, v6, v3
	v_fmac_f32_e32 v13, 0x3f737871, v247
	v_add_f32_e32 v3, v3, v167
	v_add_f32_e32 v12, v2, v6
	v_sub_f32_e32 v6, v13, v9
	v_add_f32_e32 v2, v2, v3
	v_accvgpr_read_b32 v3, a64
	v_add_f32_e32 v14, v8, v6
	v_lshlrev_b32_e32 v13, 3, v3
	v_pk_add_f32 v[6:7], v[242:243], v[244:245]
	v_pk_add_f32 v[8:9], v[252:253], v[250:251]
	ds_write_b128 v13, v[6:9]
	v_pk_add_f32 v[6:7], v[168:169], v[4:5]
	s_mov_b32 s20, s15
	v_pk_fma_f32 v[6:7], -0.5, v[6:7], v[164:165] op_sel_hi:[0,1,1]
	v_pk_mul_f32 v[8:9], v[238:239], s[20:21] op_sel_hi:[1,0]
	s_mov_b32 s20, s1
	v_pk_add_f32 v[18:19], v[160:161], v[168:169] neg_lo:[0,1] neg_hi:[0,1]
	v_pk_add_f32 v[0:1], v[0:1], v[4:5] neg_lo:[0,1] neg_hi:[0,1]
	v_pk_mul_f32 v[16:17], v[236:237], s[20:21] op_sel_hi:[1,0]
	v_pk_add_f32 v[4:5], v[18:19], v[0:1]
	v_pk_add_f32 v[0:1], v[6:7], v[8:9] op_sel:[0,1] op_sel_hi:[1,0]
	v_pk_add_f32 v[6:7], v[6:7], v[8:9] op_sel:[0,1] op_sel_hi:[1,0] neg_lo:[0,1] neg_hi:[0,1]
	v_pk_add_f32 v[8:9], v[0:1], v[16:17] op_sel:[0,1] op_sel_hi:[1,0] neg_lo:[0,1] neg_hi:[0,1]
	v_pk_add_f32 v[6:7], v[6:7], v[16:17] op_sel:[0,1] op_sel_hi:[1,0]
	v_mov_b32_e32 v0, v8
	v_mov_b32_e32 v1, v7
	v_pk_fma_f32 v[16:17], v[4:5], s[0:1], v[0:1] op_sel_hi:[1,0,1]
	v_pk_mul_f32 v[0:1], v[2:3], s[16:17] op_sel_hi:[0,1]
	v_pk_fma_f32 v[18:19], v[14:15], s[14:15], v[0:1] neg_lo:[0,0,1] neg_hi:[0,0,1]
	v_pk_fma_f32 v[0:1], v[14:15], s[14:15], v[0:1] op_sel_hi:[0,1,1]
	v_pk_mul_f32 v[2:3], v[12:13], s[16:17] op_sel_hi:[0,1]
	v_mov_b32_e32 v7, v9
	v_mov_b32_e32 v19, v1
	v_pk_fma_f32 v[10:11], v[10:11], s[24:25], v[2:3] op_sel_hi:[0,1,1] neg_lo:[0,0,1] neg_hi:[0,0,1]
	v_pk_fma_f32 v[4:5], v[4:5], s[0:1], v[6:7] op_sel_hi:[1,0,1]
	v_pk_add_f32 v[0:1], v[16:17], v[18:19]
	v_pk_add_f32 v[2:3], v[4:5], v[10:11]
	ds_write_b128 v13, v[0:3] offset:16
	ds_write_b128 v13, v[172:175] offset:32
	v_pk_add_f32 v[178:179], v[16:17], v[18:19] neg_lo:[0,1] neg_hi:[0,1]
	v_pk_add_f32 v[0:1], v[4:5], v[10:11] neg_lo:[0,1] neg_hi:[0,1]
	;; [unrolled: 1-line block ×3, first 2 shown]
	ds_write_b128 v13, v[176:179] offset:48
	ds_write_b128 v13, v[0:3] offset:64
.LBB0_21:
	s_or_b64 exec, exec, s[18:19]
	v_add_u32_e32 v0, 0x1400, v218
	s_waitcnt lgkmcnt(0)
	s_barrier
	ds_read2_b64 v[202:205], v0 offset0:110 offset1:200
	v_add_u32_e32 v0, 0x2c00, v218
	ds_read2_b64 v[198:201], v0 offset0:92 offset1:182
	v_add_u32_e32 v0, 0x400, v218
	;; [unrolled: 2-line block ×7, first 2 shown]
	v_add_u32_e32 v4, 0x2800, v218
	ds_read2_b64 v[168:171], v0 offset0:68 offset1:158
	v_add_u32_e32 v0, 0x1000, v218
	ds_read2_b64 v[160:163], v4 offset0:10 offset1:100
	v_add_u32_e32 v4, 0x3c00, v218
	ds_read2_b64 v[194:197], v218 offset1:90
	ds_read2_b64 v[0:3], v0 offset0:28 offset1:118
	ds_read2_b64 v[4:7], v4 offset0:120 offset1:210
	v_mov_b32_e32 v14, v28
	v_mov_b32_e32 v15, v28
	;; [unrolled: 1-line block ×48, first 2 shown]
	s_and_saveexec_b64 s[0:1], s[2:3]
	s_cbranch_execz .LBB0_23
; %bb.22:
	ds_read_b64 v[172:173], v218 offset:5760
	ds_read_b64 v[174:175], v218 offset:11760
	;; [unrolled: 1-line block ×3, first 2 shown]
.LBB0_23:
	s_or_b64 exec, exec, s[0:1]
	v_accvgpr_read_b32 v20, a76
	v_accvgpr_read_b32 v21, a77
	;; [unrolled: 1-line block ×4, first 2 shown]
	v_mov_b32_e32 v240, v20
	v_mov_b32_e32 v241, v20
	;; [unrolled: 1-line block ×6, first 2 shown]
	v_accvgpr_write_b32 a79, v23
	v_accvgpr_write_b32 a78, v22
	v_accvgpr_write_b32 a77, v21
	v_accvgpr_write_b32 a76, v20
	v_accvgpr_read_b32 v20, a60
	v_accvgpr_read_b32 v21, a61
	;; [unrolled: 1-line block ×4, first 2 shown]
	v_mov_b32_e32 v236, v20
	v_mov_b32_e32 v237, v20
	;; [unrolled: 1-line block ×6, first 2 shown]
	v_accvgpr_write_b32 a67, v23
	v_accvgpr_write_b32 a66, v22
	;; [unrolled: 1-line block ×4, first 2 shown]
	v_accvgpr_read_b32 v20, a52
	v_accvgpr_read_b32 v21, a53
	v_accvgpr_read_b32 v22, a54
	v_accvgpr_read_b32 v23, a55
	v_mov_b32_e32 v216, v60
	v_mov_b32_e32 v217, v60
	;; [unrolled: 1-line block ×9, first 2 shown]
	v_accvgpr_write_b32 a55, v23
	v_mov_b32_e32 v214, v62
	v_mov_b32_e32 v215, v62
	;; [unrolled: 1-line block ×3, first 2 shown]
	v_accvgpr_write_b32 a60, v60
	v_accvgpr_write_b32 a54, v22
	v_accvgpr_write_b32 a53, v21
	v_accvgpr_write_b32 a52, v20
	v_accvgpr_read_b32 v20, a48
	v_accvgpr_write_b32 a61, v61
	v_accvgpr_write_b32 a62, v62
	;; [unrolled: 1-line block ×3, first 2 shown]
	v_accvgpr_read_b32 v21, a49
	v_accvgpr_read_b32 v22, a50
	;; [unrolled: 1-line block ×4, first 2 shown]
	v_mov_b32_e32 v208, v20
	v_mov_b32_e32 v209, v20
	;; [unrolled: 1-line block ×6, first 2 shown]
	v_accvgpr_write_b32 a51, v23
	v_accvgpr_read_b32 v62, a58
	v_accvgpr_read_b32 v61, a57
	;; [unrolled: 1-line block ×3, first 2 shown]
	v_accvgpr_write_b32 a50, v22
	v_accvgpr_write_b32 a49, v21
	;; [unrolled: 1-line block ×3, first 2 shown]
	s_waitcnt lgkmcnt(11)
	v_pk_mul_f32 v[20:21], v[28:29], v[202:203]
	s_waitcnt lgkmcnt(10)
	v_pk_mul_f32 v[22:23], v[30:31], v[198:199]
	s_waitcnt lgkmcnt(1)
	v_pk_mul_f32 v[28:29], v[60:61], v[174:175] op_sel_hi:[1,0]
	s_waitcnt lgkmcnt(0)
	v_pk_mul_f32 v[30:31], v[62:63], v[176:177] op_sel_hi:[1,0]
	v_pk_mul_f32 v[24:25], v[48:49], v[180:181]
	v_pk_mul_f32 v[26:27], v[50:51], v[170:171]
	v_pk_fma_f32 v[48:49], v[60:61], v[174:175], v[28:29] op_sel:[0,0,1] op_sel_hi:[1,1,0]
	v_pk_fma_f32 v[50:51], v[60:61], v[174:175], v[28:29] op_sel:[0,1,1] op_sel_hi:[1,1,0] neg_lo:[0,0,1] neg_hi:[0,0,1]
	v_pk_fma_f32 v[174:175], v[62:63], v[176:177], v[30:31] op_sel:[0,0,1] op_sel_hi:[1,1,0]
	v_pk_fma_f32 v[176:177], v[62:63], v[176:177], v[30:31] op_sel:[0,1,1] op_sel_hi:[1,1,0] neg_lo:[0,0,1] neg_hi:[0,0,1]
	v_mov_b32_e32 v28, v49
	v_mov_b32_e32 v29, v50
	;; [unrolled: 1-line block ×6, first 2 shown]
	v_pk_add_f32 v[48:49], v[28:29], v[30:31]
	v_pk_add_f32 v[50:51], v[50:51], v[176:177] neg_lo:[0,1] neg_hi:[0,1]
	v_pk_fma_f32 v[174:175], v[48:49], 0.5, v[172:173] op_sel_hi:[1,0,1] neg_lo:[1,0,0] neg_hi:[1,0,0]
	s_mov_b32 s0, 0x3f5db3d7
	v_pk_fma_f32 v[48:49], v[50:51], s[0:1], v[174:175] op_sel_hi:[1,0,1]
	v_pk_fma_f32 v[50:51], v[50:51], s[0:1], v[174:175] op_sel_hi:[1,0,1] neg_lo:[1,0,0] neg_hi:[1,0,0]
	v_pk_fma_f32 v[174:175], v[14:15], v[202:203], v[20:21] op_sel:[0,0,1] op_sel_hi:[1,1,0]
	v_pk_fma_f32 v[14:15], v[14:15], v[202:203], v[20:21] op_sel:[0,0,1] op_sel_hi:[1,1,0] neg_lo:[0,0,1] neg_hi:[0,0,1]
	v_pk_mul_f32 v[32:33], v[32:33], v[204:205]
	v_mov_b32_e32 v175, v15
	v_pk_fma_f32 v[14:15], v[12:13], v[198:199], v[22:23] op_sel:[0,0,1] op_sel_hi:[1,1,0]
	v_pk_fma_f32 v[12:13], v[12:13], v[198:199], v[22:23] op_sel:[0,0,1] op_sel_hi:[1,1,0] neg_lo:[0,0,1] neg_hi:[0,0,1]
	v_pk_mul_f32 v[34:35], v[34:35], v[200:201]
	v_mov_b32_e32 v15, v13
	v_pk_add_f32 v[12:13], v[194:195], v[174:175]
	v_pk_add_f32 v[20:21], v[174:175], v[14:15]
	;; [unrolled: 1-line block ×3, first 2 shown]
	v_pk_add_f32 v[14:15], v[174:175], v[14:15] neg_lo:[0,1] neg_hi:[0,1]
	v_pk_fma_f32 v[20:21], v[20:21], 0.5, v[194:195] op_sel_hi:[1,0,1] neg_lo:[1,0,0] neg_hi:[1,0,0]
	v_pk_mul_f32 v[14:15], v[14:15], s[0:1] op_sel_hi:[1,0]
	s_nop 0
	v_pk_add_f32 v[22:23], v[20:21], v[14:15] op_sel:[0,1] op_sel_hi:[1,0] neg_lo:[0,1] neg_hi:[0,1]
	v_pk_add_f32 v[14:15], v[20:21], v[14:15] op_sel:[0,1] op_sel_hi:[1,0]
	v_mov_b32_e32 v20, v22
	v_mov_b32_e32 v21, v15
	v_accvgpr_read_b32 v22, a68
	s_barrier
	ds_write2_b64 v22, v[12:13], v[20:21] offset1:10
	v_pk_fma_f32 v[12:13], v[10:11], v[204:205], v[32:33] op_sel:[0,0,1] op_sel_hi:[1,1,0]
	v_pk_fma_f32 v[10:11], v[10:11], v[204:205], v[32:33] op_sel:[0,0,1] op_sel_hi:[1,1,0] neg_lo:[0,0,1] neg_hi:[0,0,1]
	v_mov_b32_e32 v15, v23
	v_mov_b32_e32 v13, v11
	v_pk_fma_f32 v[10:11], v[8:9], v[200:201], v[34:35] op_sel:[0,0,1] op_sel_hi:[1,1,0]
	v_pk_fma_f32 v[8:9], v[8:9], v[200:201], v[34:35] op_sel:[0,0,1] op_sel_hi:[1,1,0] neg_lo:[0,0,1] neg_hi:[0,0,1]
	ds_write_b64 v22, v[14:15] offset:160
	v_mov_b32_e32 v11, v9
	v_pk_add_f32 v[8:9], v[196:197], v[12:13]
	v_pk_add_f32 v[14:15], v[12:13], v[10:11]
	;; [unrolled: 1-line block ×3, first 2 shown]
	v_pk_add_f32 v[10:11], v[12:13], v[10:11] neg_lo:[0,1] neg_hi:[0,1]
	v_pk_fma_f32 v[14:15], v[14:15], 0.5, v[196:197] op_sel_hi:[1,0,1] neg_lo:[1,0,0] neg_hi:[1,0,0]
	v_pk_mul_f32 v[10:11], v[10:11], s[0:1] op_sel_hi:[1,0]
	v_pk_mul_f32 v[44:45], v[44:45], v[190:191]
	v_pk_add_f32 v[12:13], v[14:15], v[10:11] op_sel:[0,1] op_sel_hi:[1,0] neg_lo:[0,1] neg_hi:[0,1]
	v_pk_add_f32 v[10:11], v[14:15], v[10:11] op_sel:[0,1] op_sel_hi:[1,0]
	v_mov_b32_e32 v14, v12
	v_mov_b32_e32 v15, v11
	v_accvgpr_read_b32 v12, a69
	v_mov_b32_e32 v11, v13
	v_pk_mul_f32 v[46:47], v[46:47], v[186:187]
	ds_write2_b64 v12, v[8:9], v[14:15] offset1:10
	ds_write_b64 v12, v[10:11] offset:160
	v_pk_fma_f32 v[8:9], v[146:147], v[190:191], v[44:45] op_sel:[0,0,1] op_sel_hi:[1,1,0]
	v_pk_fma_f32 v[10:11], v[146:147], v[190:191], v[44:45] op_sel:[0,0,1] op_sel_hi:[1,1,0] neg_lo:[0,0,1] neg_hi:[0,0,1]
	v_pk_fma_f32 v[12:13], v[144:145], v[186:187], v[46:47] op_sel:[0,0,1] op_sel_hi:[1,1,0] neg_lo:[0,0,1] neg_hi:[0,0,1]
	v_mov_b32_e32 v9, v11
	v_pk_fma_f32 v[10:11], v[144:145], v[186:187], v[46:47] op_sel:[0,0,1] op_sel_hi:[1,1,0]
	v_pk_mul_f32 v[56:57], v[56:57], v[192:193]
	v_mov_b32_e32 v11, v13
	v_pk_add_f32 v[12:13], v[8:9], v[10:11]
	v_pk_add_f32 v[14:15], v[8:9], v[10:11] neg_lo:[0,1] neg_hi:[0,1]
	v_pk_fma_f32 v[12:13], v[12:13], 0.5, v[182:183] op_sel_hi:[1,0,1] neg_lo:[1,0,0] neg_hi:[1,0,0]
	v_pk_mul_f32 v[14:15], v[14:15], s[0:1] op_sel_hi:[1,0]
	v_pk_add_f32 v[8:9], v[182:183], v[8:9]
	v_pk_add_f32 v[20:21], v[12:13], v[14:15] op_sel:[0,1] op_sel_hi:[1,0]
	v_pk_add_f32 v[12:13], v[12:13], v[14:15] op_sel:[0,1] op_sel_hi:[1,0] neg_lo:[0,1] neg_hi:[0,1]
	v_pk_add_f32 v[8:9], v[8:9], v[10:11]
	v_mov_b32_e32 v10, v12
	v_mov_b32_e32 v11, v21
	v_accvgpr_read_b32 v12, a70
	v_pk_mul_f32 v[58:59], v[58:59], v[188:189]
	ds_write2_b64 v12, v[8:9], v[10:11] offset1:10
	v_mov_b32_e32 v21, v13
	v_pk_fma_f32 v[8:9], v[138:139], v[192:193], v[56:57] op_sel:[0,0,1] op_sel_hi:[1,1,0]
	v_pk_fma_f32 v[10:11], v[138:139], v[192:193], v[56:57] op_sel:[0,0,1] op_sel_hi:[1,1,0] neg_lo:[0,0,1] neg_hi:[0,0,1]
	ds_write_b64 v12, v[20:21] offset:160
	v_mov_b32_e32 v9, v11
	v_pk_fma_f32 v[10:11], v[136:137], v[188:189], v[58:59] op_sel:[0,0,1] op_sel_hi:[1,1,0]
	v_pk_fma_f32 v[12:13], v[136:137], v[188:189], v[58:59] op_sel:[0,0,1] op_sel_hi:[1,1,0] neg_lo:[0,0,1] neg_hi:[0,0,1]
	v_pk_mul_f32 v[52:53], v[52:53], v[178:179]
	v_mov_b32_e32 v11, v13
	v_pk_add_f32 v[12:13], v[8:9], v[10:11]
	v_pk_add_f32 v[14:15], v[8:9], v[10:11] neg_lo:[0,1] neg_hi:[0,1]
	v_pk_fma_f32 v[12:13], v[12:13], 0.5, v[184:185] op_sel_hi:[1,0,1] neg_lo:[1,0,0] neg_hi:[1,0,0]
	v_pk_mul_f32 v[14:15], v[14:15], s[0:1] op_sel_hi:[1,0]
	v_pk_add_f32 v[8:9], v[184:185], v[8:9]
	v_pk_add_f32 v[20:21], v[12:13], v[14:15] op_sel:[0,1] op_sel_hi:[1,0]
	v_pk_add_f32 v[12:13], v[12:13], v[14:15] op_sel:[0,1] op_sel_hi:[1,0] neg_lo:[0,1] neg_hi:[0,1]
	v_pk_add_f32 v[8:9], v[8:9], v[10:11]
	v_mov_b32_e32 v10, v12
	v_mov_b32_e32 v11, v21
	v_accvgpr_read_b32 v12, a71
	v_pk_mul_f32 v[54:55], v[54:55], v[168:169]
	ds_write2_b64 v12, v[8:9], v[10:11] offset1:10
	v_mov_b32_e32 v21, v13
	v_pk_fma_f32 v[8:9], v[18:19], v[178:179], v[52:53] op_sel:[0,0,1] op_sel_hi:[1,1,0]
	v_pk_fma_f32 v[10:11], v[18:19], v[178:179], v[52:53] op_sel:[0,0,1] op_sel_hi:[1,1,0] neg_lo:[0,0,1] neg_hi:[0,0,1]
	ds_write_b64 v12, v[20:21] offset:160
	v_mov_b32_e32 v9, v11
	v_pk_fma_f32 v[10:11], v[16:17], v[168:169], v[54:55] op_sel:[0,0,1] op_sel_hi:[1,1,0]
	v_pk_fma_f32 v[12:13], v[16:17], v[168:169], v[54:55] op_sel:[0,0,1] op_sel_hi:[1,1,0] neg_lo:[0,0,1] neg_hi:[0,0,1]
	v_pk_mul_f32 v[40:41], v[40:41], v[160:161]
	v_mov_b32_e32 v11, v13
	v_pk_add_f32 v[12:13], v[8:9], v[10:11]
	v_pk_add_f32 v[14:15], v[8:9], v[10:11] neg_lo:[0,1] neg_hi:[0,1]
	v_pk_fma_f32 v[12:13], v[12:13], 0.5, v[164:165] op_sel_hi:[1,0,1] neg_lo:[1,0,0] neg_hi:[1,0,0]
	v_pk_mul_f32 v[14:15], v[14:15], s[0:1] op_sel_hi:[1,0]
	v_pk_add_f32 v[8:9], v[164:165], v[8:9]
	v_pk_add_f32 v[16:17], v[12:13], v[14:15] op_sel:[0,1] op_sel_hi:[1,0]
	v_pk_add_f32 v[12:13], v[12:13], v[14:15] op_sel:[0,1] op_sel_hi:[1,0] neg_lo:[0,1] neg_hi:[0,1]
	v_pk_add_f32 v[8:9], v[8:9], v[10:11]
	v_mov_b32_e32 v10, v12
	v_mov_b32_e32 v11, v17
	v_accvgpr_read_b32 v12, a72
	ds_write2_b64 v12, v[8:9], v[10:11] offset1:10
	v_mov_b32_e32 v17, v13
	v_pk_fma_f32 v[8:9], v[86:87], v[180:181], v[24:25] op_sel:[0,0,1] op_sel_hi:[1,1,0]
	v_pk_fma_f32 v[10:11], v[86:87], v[180:181], v[24:25] op_sel:[0,0,1] op_sel_hi:[1,1,0] neg_lo:[0,0,1] neg_hi:[0,0,1]
	ds_write_b64 v12, v[16:17] offset:160
	v_mov_b32_e32 v9, v11
	v_pk_fma_f32 v[10:11], v[84:85], v[170:171], v[26:27] op_sel:[0,0,1] op_sel_hi:[1,1,0]
	v_pk_fma_f32 v[12:13], v[84:85], v[170:171], v[26:27] op_sel:[0,0,1] op_sel_hi:[1,1,0] neg_lo:[0,0,1] neg_hi:[0,0,1]
	v_pk_mul_f32 v[42:43], v[42:43], v[4:5]
	v_mov_b32_e32 v11, v13
	v_pk_add_f32 v[12:13], v[8:9], v[10:11]
	v_pk_add_f32 v[14:15], v[8:9], v[10:11] neg_lo:[0,1] neg_hi:[0,1]
	v_pk_fma_f32 v[12:13], v[12:13], 0.5, v[166:167] op_sel_hi:[1,0,1] neg_lo:[1,0,0] neg_hi:[1,0,0]
	v_pk_mul_f32 v[14:15], v[14:15], s[0:1] op_sel_hi:[1,0]
	v_pk_add_f32 v[8:9], v[166:167], v[8:9]
	v_pk_add_f32 v[16:17], v[12:13], v[14:15] op_sel:[0,1] op_sel_hi:[1,0]
	v_pk_add_f32 v[12:13], v[12:13], v[14:15] op_sel:[0,1] op_sel_hi:[1,0] neg_lo:[0,1] neg_hi:[0,1]
	v_pk_add_f32 v[8:9], v[8:9], v[10:11]
	v_mov_b32_e32 v10, v12
	v_mov_b32_e32 v11, v17
	v_accvgpr_read_b32 v12, a73
	ds_write2_b64 v12, v[8:9], v[10:11] offset1:10
	v_pk_fma_f32 v[8:9], v[220:221], v[160:161], v[40:41] op_sel:[0,0,1] op_sel_hi:[1,1,0]
	v_pk_fma_f32 v[10:11], v[220:221], v[160:161], v[40:41] op_sel:[0,0,1] op_sel_hi:[1,1,0] neg_lo:[0,0,1] neg_hi:[0,0,1]
	v_mov_b32_e32 v17, v13
	v_mov_b32_e32 v9, v11
	v_pk_fma_f32 v[10:11], v[232:233], v[4:5], v[42:43] op_sel:[0,0,1] op_sel_hi:[1,1,0]
	v_pk_fma_f32 v[4:5], v[232:233], v[4:5], v[42:43] op_sel:[0,0,1] op_sel_hi:[1,1,0] neg_lo:[0,0,1] neg_hi:[0,0,1]
	ds_write_b64 v12, v[16:17] offset:160
	v_mov_b32_e32 v11, v5
	v_pk_add_f32 v[4:5], v[8:9], v[10:11]
	v_pk_add_f32 v[12:13], v[8:9], v[10:11] neg_lo:[0,1] neg_hi:[0,1]
	v_pk_fma_f32 v[4:5], v[4:5], 0.5, v[0:1] op_sel_hi:[1,0,1] neg_lo:[1,0,0] neg_hi:[1,0,0]
	v_pk_mul_f32 v[12:13], v[12:13], s[0:1] op_sel_hi:[1,0]
	v_pk_add_f32 v[0:1], v[0:1], v[8:9]
	v_pk_add_f32 v[14:15], v[4:5], v[12:13] op_sel:[0,1] op_sel_hi:[1,0]
	v_pk_add_f32 v[4:5], v[4:5], v[12:13] op_sel:[0,1] op_sel_hi:[1,0] neg_lo:[0,1] neg_hi:[0,1]
	v_pk_mul_f32 v[36:37], v[36:37], v[162:163]
	v_pk_add_f32 v[0:1], v[0:1], v[10:11]
	v_mov_b32_e32 v8, v4
	v_mov_b32_e32 v9, v15
	v_accvgpr_read_b32 v4, a74
	v_mov_b32_e32 v15, v5
	v_pk_mul_f32 v[38:39], v[38:39], v[6:7]
	ds_write2_b64 v4, v[0:1], v[8:9] offset1:10
	ds_write_b64 v4, v[14:15] offset:160
	v_pk_fma_f32 v[0:1], v[230:231], v[162:163], v[36:37] op_sel:[0,0,1] op_sel_hi:[1,1,0]
	v_pk_fma_f32 v[4:5], v[230:231], v[162:163], v[36:37] op_sel:[0,0,1] op_sel_hi:[1,1,0] neg_lo:[0,0,1] neg_hi:[0,0,1]
	v_mov_b32_e32 v228, v80
	v_mov_b32_e32 v1, v5
	v_pk_fma_f32 v[4:5], v[224:225], v[6:7], v[38:39] op_sel:[0,0,1] op_sel_hi:[1,1,0]
	v_pk_fma_f32 v[6:7], v[224:225], v[6:7], v[38:39] op_sel:[0,0,1] op_sel_hi:[1,1,0] neg_lo:[0,0,1] neg_hi:[0,0,1]
	v_mov_b32_e32 v229, v80
	v_mov_b32_e32 v5, v7
	v_pk_add_f32 v[6:7], v[0:1], v[4:5]
	v_pk_add_f32 v[8:9], v[0:1], v[4:5] neg_lo:[0,1] neg_hi:[0,1]
	v_pk_fma_f32 v[6:7], v[6:7], 0.5, v[2:3] op_sel_hi:[1,0,1] neg_lo:[1,0,0] neg_hi:[1,0,0]
	v_pk_mul_f32 v[8:9], v[8:9], s[0:1] op_sel_hi:[1,0]
	v_pk_add_f32 v[0:1], v[2:3], v[0:1]
	v_pk_add_f32 v[10:11], v[6:7], v[8:9] op_sel:[0,1] op_sel_hi:[1,0]
	v_pk_add_f32 v[6:7], v[6:7], v[8:9] op_sel:[0,1] op_sel_hi:[1,0] neg_lo:[0,1] neg_hi:[0,1]
	v_mov_b32_e32 v80, v81
	v_mov_b32_e32 v226, v82
	;; [unrolled: 1-line block ×28, first 2 shown]
	v_pk_add_f32 v[0:1], v[0:1], v[4:5]
	v_mov_b32_e32 v2, v6
	v_mov_b32_e32 v3, v11
	v_accvgpr_read_b32 v4, a75
	v_mov_b32_e32 v11, v7
	ds_write2_b64 v4, v[0:1], v[2:3] offset1:10
	ds_write_b64 v4, v[10:11] offset:160
	s_and_saveexec_b64 s[0:1], s[2:3]
	s_cbranch_execz .LBB0_25
; %bb.24:
	v_accvgpr_read_b32 v0, a45
	v_accvgpr_read_b32 v1, a46
	v_mad_legacy_u16 v0, v0, 30, v1
	v_lshlrev_b32_e32 v4, 3, v0
	v_pk_add_f32 v[0:1], v[172:173], v[28:29]
	v_mov_b32_e32 v2, v50
	v_pk_add_f32 v[0:1], v[0:1], v[30:31]
	v_mov_b32_e32 v3, v49
	ds_write2_b64 v4, v[0:1], v[2:3] offset1:10
	v_mov_b32_e32 v0, v48
	v_mov_b32_e32 v1, v51
	ds_write_b64 v4, v[0:1] offset:160
.LBB0_25:
	s_or_b64 exec, exec, s[0:1]
	v_add_u32_e32 v173, 0x1400, v218
	s_waitcnt lgkmcnt(0)
	s_barrier
	ds_read2_b64 v[8:11], v173 offset0:80 offset1:170
	v_add_u32_e32 v4, 0x2400, v218
	ds_read2_b64 v[12:15], v4 offset0:108 offset1:198
	v_add_u32_e32 v172, 0x800, v218
	v_add_u32_e32 v174, 0x3000, v218
	ds_read2_b64 v[0:3], v172 offset0:104 offset1:194
	ds_read2_b64 v[38:41], v174 offset0:84 offset1:174
	ds_read_b64 v[20:21], v218 offset:17280
	s_waitcnt lgkmcnt(4)
	v_pk_mul_f32 v[6:7], v[80:81], v[10:11]
	v_add_u32_e32 v176, 0x2000, v218
	v_pk_fma_f32 v[4:5], v[228:229], v[10:11], v[6:7] op_sel:[0,0,1] op_sel_hi:[1,1,0]
	v_pk_fma_f32 v[6:7], v[228:229], v[10:11], v[6:7] op_sel:[0,0,1] op_sel_hi:[1,1,0] neg_lo:[0,0,1] neg_hi:[0,0,1]
	s_waitcnt lgkmcnt(3)
	v_pk_mul_f32 v[10:11], v[82:83], v[12:13]
	v_mov_b32_e32 v5, v7
	v_pk_fma_f32 v[6:7], v[226:227], v[12:13], v[10:11] op_sel:[0,0,1] op_sel_hi:[1,1,0]
	v_pk_fma_f32 v[10:11], v[226:227], v[12:13], v[10:11] op_sel:[0,0,1] op_sel_hi:[1,1,0] neg_lo:[0,0,1] neg_hi:[0,0,1]
	s_mov_b32 s0, 0x3f737871
	v_mov_b32_e32 v7, v11
	s_waitcnt lgkmcnt(1)
	v_pk_mul_f32 v[10:11], v[76:77], v[40:41]
	v_pk_add_f32 v[12:13], v[4:5], v[6:7] neg_lo:[0,1] neg_hi:[0,1]
	v_pk_fma_f32 v[16:17], v[222:223], v[40:41], v[10:11] op_sel:[0,0,1] op_sel_hi:[1,1,0]
	v_pk_fma_f32 v[10:11], v[222:223], v[40:41], v[10:11] op_sel:[0,0,1] op_sel_hi:[1,1,0] neg_lo:[0,0,1] neg_hi:[0,0,1]
	ds_read2_b64 v[40:43], v176 offset0:56 offset1:146
	v_mov_b32_e32 v17, v11
	s_waitcnt lgkmcnt(1)
	v_pk_mul_f32 v[10:11], v[78:79], v[20:21]
	v_add_u32_e32 v177, 0x3c00, v218
	v_pk_fma_f32 v[18:19], v[254:255], v[20:21], v[10:11] op_sel:[0,0,1] op_sel_hi:[1,1,0]
	v_pk_fma_f32 v[10:11], v[254:255], v[20:21], v[10:11] op_sel:[0,0,1] op_sel_hi:[1,1,0] neg_lo:[0,0,1] neg_hi:[0,0,1]
	v_pk_add_f32 v[30:31], v[6:7], v[16:17] neg_lo:[0,1] neg_hi:[0,1]
	v_mov_b32_e32 v19, v11
	v_pk_add_f32 v[10:11], v[6:7], v[16:17]
	v_pk_add_f32 v[20:21], v[18:19], v[16:17] neg_lo:[0,1] neg_hi:[0,1]
	v_pk_fma_f32 v[10:11], v[10:11], 0.5, v[0:1] op_sel_hi:[1,0,1] neg_lo:[1,0,0] neg_hi:[1,0,0]
	v_pk_add_f32 v[28:29], v[4:5], v[18:19] neg_lo:[0,1] neg_hi:[0,1]
	v_pk_add_f32 v[32:33], v[12:13], v[20:21]
	v_pk_mul_f32 v[20:21], v[72:73], v[8:9]
	s_mov_b32 s16, 0x3f167918
	v_pk_fma_f32 v[12:13], v[28:29], s[0:1], v[10:11] op_sel:[1,0,0] op_sel_hi:[0,0,1]
	v_pk_fma_f32 v[10:11], v[28:29], s[0:1], v[10:11] op_sel:[1,0,0] op_sel_hi:[0,0,1] neg_lo:[1,0,0] neg_hi:[1,0,0]
	ds_read2_b64 v[44:47], v177 offset0:60 offset1:150
	v_pk_fma_f32 v[22:23], v[252:253], v[8:9], v[20:21] op_sel:[0,0,1] op_sel_hi:[1,1,0]
	v_pk_fma_f32 v[8:9], v[252:253], v[8:9], v[20:21] op_sel:[0,0,1] op_sel_hi:[1,1,0] neg_lo:[0,0,1] neg_hi:[0,0,1]
	v_pk_fma_f32 v[34:35], v[30:31], s[16:17], v[10:11] op_sel:[1,0,0] op_sel_hi:[0,0,1] neg_lo:[1,0,0] neg_hi:[1,0,0]
	v_pk_fma_f32 v[36:37], v[30:31], s[16:17], v[12:13] op_sel:[1,0,0] op_sel_hi:[0,0,1]
	v_mov_b32_e32 v23, v9
	s_waitcnt lgkmcnt(1)
	v_pk_mul_f32 v[8:9], v[74:75], v[42:43]
	s_mov_b32 s14, 0x3e9e377a
	v_mov_b32_e32 v10, v36
	v_mov_b32_e32 v11, v35
	v_add_u32_e32 v175, 0x400, v218
	v_pk_fma_f32 v[20:21], v[250:251], v[42:43], v[8:9] op_sel:[0,0,1] op_sel_hi:[1,1,0]
	v_pk_fma_f32 v[8:9], v[250:251], v[42:43], v[8:9] op_sel:[0,0,1] op_sel_hi:[1,1,0] neg_lo:[0,0,1] neg_hi:[0,0,1]
	v_pk_fma_f32 v[52:53], v[32:33], s[14:15], v[10:11] op_sel_hi:[1,0,1]
	ds_read2_b64 v[10:13], v175 offset0:52 offset1:142
	v_mov_b32_e32 v21, v9
	v_pk_mul_f32 v[8:9], v[68:69], v[38:39]
	v_add_u32_e32 v178, 0x2800, v218
	v_pk_fma_f32 v[24:25], v[248:249], v[38:39], v[8:9] op_sel:[0,0,1] op_sel_hi:[1,1,0]
	v_pk_fma_f32 v[8:9], v[248:249], v[38:39], v[8:9] op_sel:[0,0,1] op_sel_hi:[1,1,0] neg_lo:[0,0,1] neg_hi:[0,0,1]
	v_pk_add_f32 v[38:39], v[22:23], v[20:21] neg_lo:[0,1] neg_hi:[0,1]
	v_mov_b32_e32 v25, v9
	s_waitcnt lgkmcnt(1)
	v_pk_mul_f32 v[8:9], v[70:71], v[46:47]
	v_pk_add_f32 v[72:73], v[20:21], v[24:25] neg_lo:[0,1] neg_hi:[0,1]
	v_pk_fma_f32 v[26:27], v[246:247], v[46:47], v[8:9] op_sel:[0,0,1] op_sel_hi:[1,1,0]
	v_pk_fma_f32 v[8:9], v[246:247], v[46:47], v[8:9] op_sel:[0,0,1] op_sel_hi:[1,1,0] neg_lo:[0,0,1] neg_hi:[0,0,1]
	ds_read2_b64 v[68:71], v178 offset0:160 offset1:250
	v_mov_b32_e32 v27, v9
	v_pk_add_f32 v[8:9], v[20:21], v[24:25]
	v_pk_add_f32 v[46:47], v[22:23], v[26:27] neg_lo:[0,1] neg_hi:[0,1]
	s_waitcnt lgkmcnt(1)
	v_pk_fma_f32 v[8:9], v[8:9], 0.5, v[12:13] op_sel_hi:[1,0,1] neg_lo:[1,0,0] neg_hi:[1,0,0]
	v_pk_add_f32 v[42:43], v[26:27], v[24:25] neg_lo:[0,1] neg_hi:[0,1]
	v_accvgpr_read_b32 v147, a67
	v_pk_add_f32 v[74:75], v[38:39], v[42:43]
	v_pk_fma_f32 v[38:39], v[46:47], s[0:1], v[8:9] op_sel:[1,0,0] op_sel_hi:[0,0,1]
	v_pk_fma_f32 v[76:77], v[72:73], s[16:17], v[38:39] op_sel:[1,0,0] op_sel_hi:[0,0,1]
	v_mov_b32_e32 v38, v76
	v_add_u32_e32 v76, 0x1000, v218
	ds_read2_b64 v[54:57], v76 offset0:28 offset1:118
	v_pk_fma_f32 v[8:9], v[46:47], s[0:1], v[8:9] op_sel:[1,0,0] op_sel_hi:[0,0,1] neg_lo:[1,0,0] neg_hi:[1,0,0]
	v_pk_fma_f32 v[8:9], v[72:73], s[16:17], v[8:9] op_sel:[1,0,0] op_sel_hi:[0,0,1] neg_lo:[1,0,0] neg_hi:[1,0,0]
	v_mov_b32_e32 v39, v9
	v_pk_fma_f32 v[78:79], v[74:75], s[14:15], v[38:39] op_sel_hi:[1,0,1]
	s_waitcnt lgkmcnt(0)
	v_pk_mul_f32 v[38:39], v[64:65], v[56:57]
	v_accvgpr_read_b32 v145, a65
	v_pk_fma_f32 v[64:65], v[244:245], v[56:57], v[38:39] op_sel:[0,0,1] op_sel_hi:[1,1,0]
	v_pk_fma_f32 v[38:39], v[244:245], v[56:57], v[38:39] op_sel:[0,0,1] op_sel_hi:[1,1,0] neg_lo:[0,0,1] neg_hi:[0,0,1]
	v_accvgpr_read_b32 v144, a64
	v_mov_b32_e32 v65, v39
	v_pk_mul_f32 v[38:39], v[66:67], v[40:41]
	v_add_u32_e32 v179, 0x3800, v218
	v_pk_fma_f32 v[66:67], v[242:243], v[40:41], v[38:39] op_sel:[0,0,1] op_sel_hi:[1,1,0]
	v_pk_fma_f32 v[38:39], v[242:243], v[40:41], v[38:39] op_sel:[0,0,1] op_sel_hi:[1,1,0] neg_lo:[0,0,1] neg_hi:[0,0,1]
	v_pk_mul_f32 v[138:139], v[144:145], v[54:55]
	v_mov_b32_e32 v67, v39
	v_accvgpr_read_b32 v38, a76
	v_accvgpr_read_b32 v39, a77
	v_pk_mul_f32 v[38:39], v[38:39], v[70:71]
	v_accvgpr_read_b32 v40, a78
	v_accvgpr_read_b32 v41, a79
	v_pk_fma_f32 v[60:61], v[240:241], v[70:71], v[38:39] op_sel:[0,0,1] op_sel_hi:[1,1,0]
	v_pk_fma_f32 v[38:39], v[240:241], v[70:71], v[38:39] op_sel:[0,0,1] op_sel_hi:[1,1,0] neg_lo:[0,0,1] neg_hi:[0,0,1]
	ds_read2_b64 v[56:59], v179 offset0:8 offset1:98
	v_mov_b32_e32 v61, v39
	v_pk_mul_f32 v[38:39], v[40:41], v[44:45]
	v_pk_add_f32 v[40:41], v[64:65], v[66:67] neg_lo:[0,1] neg_hi:[0,1]
	v_pk_fma_f32 v[62:63], v[238:239], v[44:45], v[38:39] op_sel:[0,0,1] op_sel_hi:[1,1,0]
	v_pk_fma_f32 v[38:39], v[238:239], v[44:45], v[38:39] op_sel:[0,0,1] op_sel_hi:[1,1,0] neg_lo:[0,0,1] neg_hi:[0,0,1]
	v_pk_add_f32 v[80:81], v[66:67], v[60:61] neg_lo:[0,1] neg_hi:[0,1]
	v_mov_b32_e32 v63, v39
	v_pk_add_f32 v[38:39], v[66:67], v[60:61]
	v_pk_add_f32 v[70:71], v[64:65], v[62:63] neg_lo:[0,1] neg_hi:[0,1]
	v_pk_fma_f32 v[38:39], v[38:39], 0.5, v[10:11] op_sel_hi:[1,0,1] neg_lo:[1,0,0] neg_hi:[1,0,0]
	v_pk_add_f32 v[42:43], v[62:63], v[60:61] neg_lo:[0,1] neg_hi:[0,1]
	v_accvgpr_read_b32 v146, a66
	v_pk_add_f32 v[82:83], v[40:41], v[42:43]
	v_pk_fma_f32 v[40:41], v[70:71], s[0:1], v[38:39] op_sel:[1,0,0] op_sel_hi:[0,0,1]
	v_pk_fma_f32 v[38:39], v[70:71], s[0:1], v[38:39] op_sel:[1,0,0] op_sel_hi:[0,0,1] neg_lo:[1,0,0] neg_hi:[1,0,0]
	v_pk_fma_f32 v[86:87], v[80:81], s[16:17], v[40:41] op_sel:[1,0,0] op_sel_hi:[0,0,1]
	v_pk_fma_f32 v[84:85], v[80:81], s[16:17], v[38:39] op_sel:[1,0,0] op_sel_hi:[0,0,1] neg_lo:[1,0,0] neg_hi:[1,0,0]
	v_mov_b32_e32 v38, v86
	v_add_u32_e32 v86, 0x1800, v218
	ds_read2_b64 v[42:45], v86 offset0:132 offset1:222
	v_pk_fma_f32 v[144:145], v[236:237], v[54:55], v[138:139] op_sel:[0,0,1] op_sel_hi:[1,1,0]
	v_pk_fma_f32 v[54:55], v[236:237], v[54:55], v[138:139] op_sel:[0,0,1] op_sel_hi:[1,1,0] neg_lo:[0,0,1] neg_hi:[0,0,1]
	v_accvgpr_read_b32 v163, a63
	v_mov_b32_e32 v145, v55
	s_waitcnt lgkmcnt(0)
	v_pk_mul_f32 v[54:55], v[146:147], v[44:45]
	v_accvgpr_read_b32 v161, a61
	v_pk_fma_f32 v[138:139], v[234:235], v[44:45], v[54:55] op_sel:[0,0,1] op_sel_hi:[1,1,0]
	v_pk_fma_f32 v[44:45], v[234:235], v[44:45], v[54:55] op_sel:[0,0,1] op_sel_hi:[1,1,0] neg_lo:[0,0,1] neg_hi:[0,0,1]
	v_accvgpr_read_b32 v160, a60
	v_mov_b32_e32 v139, v45
	v_pk_mul_f32 v[44:45], v[160:161], v[68:69]
	v_accvgpr_read_b32 v162, a62
	v_pk_fma_f32 v[54:55], v[216:217], v[68:69], v[44:45] op_sel:[0,0,1] op_sel_hi:[1,1,0]
	v_pk_fma_f32 v[44:45], v[216:217], v[68:69], v[44:45] op_sel:[0,0,1] op_sel_hi:[1,1,0] neg_lo:[0,0,1] neg_hi:[0,0,1]
	v_mov_b32_e32 v39, v85
	v_mov_b32_e32 v55, v45
	v_pk_mul_f32 v[44:45], v[162:163], v[58:59]
	v_accvgpr_read_b32 v163, a55
	v_accvgpr_read_b32 v161, a53
	v_accvgpr_read_b32 v160, a52
	v_pk_fma_f32 v[68:69], v[214:215], v[58:59], v[44:45] op_sel:[0,0,1] op_sel_hi:[1,1,0]
	v_pk_fma_f32 v[44:45], v[214:215], v[58:59], v[44:45] op_sel:[0,0,1] op_sel_hi:[1,1,0] neg_lo:[0,0,1] neg_hi:[0,0,1]
	v_pk_mul_f32 v[58:59], v[160:161], v[2:3]
	v_accvgpr_read_b32 v162, a54
	v_pk_fma_f32 v[146:147], v[212:213], v[2:3], v[58:59] op_sel:[0,0,1] op_sel_hi:[1,1,0]
	v_pk_fma_f32 v[2:3], v[212:213], v[2:3], v[58:59] op_sel:[0,0,1] op_sel_hi:[1,1,0] neg_lo:[0,0,1] neg_hi:[0,0,1]
	v_pk_fma_f32 v[136:137], v[82:83], s[14:15], v[38:39] op_sel_hi:[1,0,1]
	v_mov_b32_e32 v147, v3
	v_pk_mul_f32 v[2:3], v[162:163], v[42:43]
	v_accvgpr_read_b32 v163, a51
	v_pk_fma_f32 v[58:59], v[210:211], v[42:43], v[2:3] op_sel:[0,0,1] op_sel_hi:[1,1,0]
	v_pk_fma_f32 v[2:3], v[210:211], v[42:43], v[2:3] op_sel:[0,0,1] op_sel_hi:[1,1,0] neg_lo:[0,0,1] neg_hi:[0,0,1]
	v_accvgpr_read_b32 v161, a49
	v_accvgpr_read_b32 v160, a48
	v_mov_b32_e32 v59, v3
	v_pk_mul_f32 v[2:3], v[160:161], v[14:15]
	ds_read2_b64 v[38:41], v218 offset1:90
	v_accvgpr_read_b32 v162, a50
	v_pk_fma_f32 v[42:43], v[208:209], v[14:15], v[2:3] op_sel:[0,0,1] op_sel_hi:[1,1,0]
	v_pk_fma_f32 v[2:3], v[208:209], v[14:15], v[2:3] op_sel:[0,0,1] op_sel_hi:[1,1,0] neg_lo:[0,0,1] neg_hi:[0,0,1]
	v_pk_add_f32 v[168:169], v[146:147], v[58:59] neg_lo:[0,1] neg_hi:[0,1]
	v_mov_b32_e32 v43, v3
	v_pk_mul_f32 v[2:3], v[162:163], v[56:57]
	v_pk_add_f32 v[164:165], v[58:59], v[42:43] neg_lo:[0,1] neg_hi:[0,1]
	v_pk_fma_f32 v[14:15], v[206:207], v[56:57], v[2:3] op_sel:[0,0,1] op_sel_hi:[1,1,0]
	v_pk_fma_f32 v[2:3], v[206:207], v[56:57], v[2:3] op_sel:[0,0,1] op_sel_hi:[1,1,0] neg_lo:[0,0,1] neg_hi:[0,0,1]
	v_pk_add_f32 v[56:57], v[58:59], v[42:43]
	v_mov_b32_e32 v15, v3
	v_pk_add_f32 v[160:161], v[146:147], v[14:15] neg_lo:[0,1] neg_hi:[0,1]
	s_waitcnt lgkmcnt(0)
	v_pk_fma_f32 v[56:57], v[56:57], 0.5, v[38:39] op_sel_hi:[1,0,1] neg_lo:[1,0,0] neg_hi:[1,0,0]
	v_pk_mul_f32 v[162:163], v[160:161], s[0:1] op_sel_hi:[1,0]
	v_pk_add_f32 v[170:171], v[14:15], v[42:43] neg_lo:[0,1] neg_hi:[0,1]
	v_pk_add_f32 v[2:3], v[38:39], v[146:147]
	v_pk_mul_f32 v[166:167], v[164:165], s[16:17] op_sel_hi:[1,0]
	v_pk_add_f32 v[168:169], v[168:169], v[170:171]
	v_pk_add_f32 v[170:171], v[56:57], v[162:163] op_sel:[0,1] op_sel_hi:[1,0] neg_lo:[0,1] neg_hi:[0,1]
	v_pk_add_f32 v[56:57], v[56:57], v[162:163] op_sel:[0,1] op_sel_hi:[1,0]
	v_pk_add_f32 v[2:3], v[2:3], v[58:59]
	v_pk_add_f32 v[56:57], v[56:57], v[166:167] op_sel:[0,1] op_sel_hi:[1,0]
	v_pk_add_f32 v[162:163], v[170:171], v[166:167] op_sel:[0,1] op_sel_hi:[1,0] neg_lo:[0,1] neg_hi:[0,1]
	v_pk_add_f32 v[2:3], v[2:3], v[42:43]
	v_mov_b32_e32 v166, v162
	v_mov_b32_e32 v167, v57
	v_pk_add_f32 v[2:3], v[2:3], v[14:15]
	v_pk_fma_f32 v[166:167], v[168:169], s[14:15], v[166:167] op_sel_hi:[1,0,1]
	v_accvgpr_read_b32 v9, a83
	s_barrier
	ds_write2_b64 v9, v[2:3], v[166:167] offset1:30
	v_pk_add_f32 v[2:3], v[146:147], v[14:15]
	v_pk_add_f32 v[14:15], v[42:43], v[14:15] neg_lo:[0,1] neg_hi:[0,1]
	v_pk_fma_f32 v[2:3], v[2:3], 0.5, v[38:39] op_sel_hi:[1,0,1] neg_lo:[1,0,0] neg_hi:[1,0,0]
	v_pk_add_f32 v[38:39], v[58:59], v[146:147] neg_lo:[0,1] neg_hi:[0,1]
	v_pk_mul_f32 v[42:43], v[160:161], s[16:17] op_sel_hi:[1,0]
	v_pk_add_f32 v[14:15], v[38:39], v[14:15]
	v_pk_mul_f32 v[38:39], v[164:165], s[0:1] op_sel_hi:[1,0]
	v_mov_b32_e32 v57, v163
	v_pk_add_f32 v[58:59], v[2:3], v[38:39] op_sel:[0,1] op_sel_hi:[1,0]
	v_pk_add_f32 v[2:3], v[2:3], v[38:39] op_sel:[0,1] op_sel_hi:[1,0] neg_lo:[0,1] neg_hi:[0,1]
	v_pk_add_f32 v[38:39], v[58:59], v[42:43] op_sel:[0,1] op_sel_hi:[1,0] neg_lo:[0,1] neg_hi:[0,1]
	v_pk_add_f32 v[2:3], v[2:3], v[42:43] op_sel:[0,1] op_sel_hi:[1,0]
	v_mov_b32_e32 v42, v38
	v_mov_b32_e32 v43, v3
	;; [unrolled: 1-line block ×3, first 2 shown]
	v_pk_fma_f32 v[42:43], v[14:15], s[14:15], v[42:43] op_sel_hi:[1,0,1]
	v_pk_fma_f32 v[2:3], v[14:15], s[14:15], v[2:3] op_sel_hi:[1,0,1]
	v_mov_b32_e32 v69, v45
	ds_write2_b64 v9, v[42:43], v[2:3] offset0:60 offset1:90
	v_pk_fma_f32 v[2:3], v[168:169], s[14:15], v[56:57] op_sel_hi:[1,0,1]
	ds_write_b64 v9, v[2:3] offset:960
	v_pk_add_f32 v[2:3], v[138:139], v[54:55]
	v_pk_add_f32 v[14:15], v[144:145], v[68:69] neg_lo:[0,1] neg_hi:[0,1]
	v_pk_fma_f32 v[2:3], v[2:3], 0.5, v[40:41] op_sel_hi:[1,0,1] neg_lo:[1,0,0] neg_hi:[1,0,0]
	v_pk_mul_f32 v[38:39], v[14:15], s[0:1] op_sel_hi:[1,0]
	v_pk_add_f32 v[42:43], v[138:139], v[54:55] neg_lo:[0,1] neg_hi:[0,1]
	v_pk_add_f32 v[58:59], v[144:145], v[138:139] neg_lo:[0,1] neg_hi:[0,1]
	;; [unrolled: 1-line block ×3, first 2 shown]
	v_pk_add_f32 v[44:45], v[40:41], v[144:145]
	v_pk_mul_f32 v[56:57], v[42:43], s[16:17] op_sel_hi:[1,0]
	v_pk_add_f32 v[58:59], v[58:59], v[146:147]
	v_pk_add_f32 v[146:147], v[2:3], v[38:39] op_sel:[0,1] op_sel_hi:[1,0] neg_lo:[0,1] neg_hi:[0,1]
	v_pk_add_f32 v[2:3], v[2:3], v[38:39] op_sel:[0,1] op_sel_hi:[1,0]
	v_pk_add_f32 v[44:45], v[44:45], v[138:139]
	v_pk_add_f32 v[2:3], v[2:3], v[56:57] op_sel:[0,1] op_sel_hi:[1,0]
	v_pk_add_f32 v[38:39], v[146:147], v[56:57] op_sel:[0,1] op_sel_hi:[1,0] neg_lo:[0,1] neg_hi:[0,1]
	v_pk_add_f32 v[44:45], v[44:45], v[54:55]
	v_mov_b32_e32 v56, v38
	v_mov_b32_e32 v57, v3
	v_pk_add_f32 v[44:45], v[44:45], v[68:69]
	v_pk_fma_f32 v[56:57], v[58:59], s[14:15], v[56:57] op_sel_hi:[1,0,1]
	v_accvgpr_read_b32 v9, a82
	ds_write2_b64 v9, v[44:45], v[56:57] offset1:30
	v_pk_add_f32 v[44:45], v[144:145], v[68:69]
	v_pk_add_f32 v[54:55], v[54:55], v[68:69] neg_lo:[0,1] neg_hi:[0,1]
	v_pk_fma_f32 v[40:41], v[44:45], 0.5, v[40:41] op_sel_hi:[1,0,1] neg_lo:[1,0,0] neg_hi:[1,0,0]
	v_pk_add_f32 v[44:45], v[138:139], v[144:145] neg_lo:[0,1] neg_hi:[0,1]
	v_pk_mul_f32 v[42:43], v[42:43], s[0:1] op_sel_hi:[1,0]
	v_mov_b32_e32 v3, v39
	v_pk_add_f32 v[44:45], v[44:45], v[54:55]
	v_pk_mul_f32 v[14:15], v[14:15], s[16:17] op_sel_hi:[1,0]
	v_pk_add_f32 v[54:55], v[40:41], v[42:43] op_sel:[0,1] op_sel_hi:[1,0]
	v_pk_add_f32 v[40:41], v[40:41], v[42:43] op_sel:[0,1] op_sel_hi:[1,0] neg_lo:[0,1] neg_hi:[0,1]
	v_pk_fma_f32 v[2:3], v[58:59], s[14:15], v[2:3] op_sel_hi:[1,0,1]
	v_pk_add_f32 v[40:41], v[40:41], v[14:15] op_sel:[0,1] op_sel_hi:[1,0]
	v_pk_add_f32 v[14:15], v[54:55], v[14:15] op_sel:[0,1] op_sel_hi:[1,0] neg_lo:[0,1] neg_hi:[0,1]
	ds_write_b64 v9, v[2:3] offset:960
	v_pk_add_f32 v[2:3], v[10:11], v[64:65]
	v_mov_b32_e32 v42, v14
	v_mov_b32_e32 v43, v41
	;; [unrolled: 1-line block ×3, first 2 shown]
	v_pk_add_f32 v[2:3], v[2:3], v[66:67]
	v_pk_fma_f32 v[42:43], v[44:45], s[14:15], v[42:43] op_sel_hi:[1,0,1]
	v_pk_fma_f32 v[14:15], v[44:45], s[14:15], v[40:41] op_sel_hi:[1,0,1]
	v_pk_add_f32 v[2:3], v[2:3], v[60:61]
	v_mov_b32_e32 v85, v87
	ds_write2_b64 v9, v[42:43], v[14:15] offset0:60 offset1:90
	v_pk_add_f32 v[2:3], v[2:3], v[62:63]
	v_pk_fma_f32 v[14:15], v[82:83], s[14:15], v[84:85] op_sel_hi:[1,0,1]
	v_accvgpr_read_b32 v9, a81
	ds_write2_b64 v9, v[2:3], v[14:15] offset1:30
	v_pk_add_f32 v[2:3], v[64:65], v[62:63]
	v_pk_add_f32 v[14:15], v[60:61], v[62:63] neg_lo:[0,1] neg_hi:[0,1]
	v_pk_fma_f32 v[2:3], v[2:3], 0.5, v[10:11] op_sel_hi:[1,0,1] neg_lo:[1,0,0] neg_hi:[1,0,0]
	v_pk_add_f32 v[10:11], v[66:67], v[64:65] neg_lo:[0,1] neg_hi:[0,1]
	v_mov_b32_e32 v35, v37
	v_pk_add_f32 v[10:11], v[10:11], v[14:15]
	v_pk_fma_f32 v[14:15], v[80:81], s[0:1], v[2:3] op_sel:[1,0,0] op_sel_hi:[0,0,1] neg_lo:[1,0,0] neg_hi:[1,0,0]
	v_pk_fma_f32 v[2:3], v[80:81], s[0:1], v[2:3] op_sel:[1,0,0] op_sel_hi:[0,0,1]
	v_pk_fma_f32 v[2:3], v[70:71], s[16:17], v[2:3] op_sel:[1,0,0] op_sel_hi:[0,0,1] neg_lo:[1,0,0] neg_hi:[1,0,0]
	v_pk_fma_f32 v[14:15], v[70:71], s[16:17], v[14:15] op_sel:[1,0,0] op_sel_hi:[0,0,1]
	v_mov_b32_e32 v38, v14
	v_mov_b32_e32 v39, v3
	;; [unrolled: 1-line block ×3, first 2 shown]
	v_pk_fma_f32 v[38:39], v[10:11], s[14:15], v[38:39] op_sel_hi:[1,0,1]
	v_pk_fma_f32 v[2:3], v[10:11], s[14:15], v[2:3] op_sel_hi:[1,0,1]
	ds_write2_b64 v9, v[2:3], v[38:39] offset0:60 offset1:90
	ds_write_b64 v9, v[136:137] offset:960
	v_pk_add_f32 v[2:3], v[12:13], v[22:23]
	v_mov_b32_e32 v9, v77
	v_pk_add_f32 v[2:3], v[2:3], v[20:21]
	v_pk_fma_f32 v[8:9], v[74:75], s[14:15], v[8:9] op_sel_hi:[1,0,1]
	v_pk_add_f32 v[2:3], v[2:3], v[24:25]
	v_accvgpr_read_b32 v14, a80
	v_pk_add_f32 v[2:3], v[2:3], v[26:27]
	ds_write2_b64 v14, v[2:3], v[8:9] offset1:30
	v_pk_add_f32 v[2:3], v[22:23], v[26:27]
	v_pk_add_f32 v[8:9], v[20:21], v[22:23] neg_lo:[0,1] neg_hi:[0,1]
	v_pk_fma_f32 v[2:3], v[2:3], 0.5, v[12:13] op_sel_hi:[1,0,1] neg_lo:[1,0,0] neg_hi:[1,0,0]
	v_pk_add_f32 v[10:11], v[24:25], v[26:27] neg_lo:[0,1] neg_hi:[0,1]
	s_nop 0
	v_pk_add_f32 v[8:9], v[8:9], v[10:11]
	v_pk_fma_f32 v[10:11], v[72:73], s[0:1], v[2:3] op_sel:[1,0,0] op_sel_hi:[0,0,1] neg_lo:[1,0,0] neg_hi:[1,0,0]
	v_pk_fma_f32 v[2:3], v[72:73], s[0:1], v[2:3] op_sel:[1,0,0] op_sel_hi:[0,0,1]
	v_pk_fma_f32 v[2:3], v[46:47], s[16:17], v[2:3] op_sel:[1,0,0] op_sel_hi:[0,0,1] neg_lo:[1,0,0] neg_hi:[1,0,0]
	v_pk_fma_f32 v[10:11], v[46:47], s[16:17], v[10:11] op_sel:[1,0,0] op_sel_hi:[0,0,1]
	v_mov_b32_e32 v12, v10
	v_mov_b32_e32 v13, v3
	;; [unrolled: 1-line block ×3, first 2 shown]
	v_pk_fma_f32 v[12:13], v[8:9], s[14:15], v[12:13] op_sel_hi:[1,0,1]
	v_pk_fma_f32 v[2:3], v[8:9], s[14:15], v[2:3] op_sel_hi:[1,0,1]
	ds_write2_b64 v14, v[2:3], v[12:13] offset0:60 offset1:90
	ds_write_b64 v14, v[78:79] offset:960
	v_pk_add_f32 v[2:3], v[0:1], v[4:5]
	v_pk_fma_f32 v[8:9], v[32:33], s[14:15], v[34:35] op_sel_hi:[1,0,1]
	v_pk_add_f32 v[2:3], v[2:3], v[6:7]
	v_accvgpr_read_b32 v10, a92
	v_pk_add_f32 v[2:3], v[2:3], v[16:17]
	s_nop 0
	v_pk_add_f32 v[2:3], v[2:3], v[18:19]
	ds_write2_b64 v10, v[2:3], v[8:9] offset1:30
	v_pk_add_f32 v[2:3], v[4:5], v[18:19]
	s_nop 0
	v_pk_fma_f32 v[0:1], v[2:3], 0.5, v[0:1] op_sel_hi:[1,0,1] neg_lo:[1,0,0] neg_hi:[1,0,0]
	v_pk_add_f32 v[2:3], v[6:7], v[4:5] neg_lo:[0,1] neg_hi:[0,1]
	v_pk_add_f32 v[4:5], v[16:17], v[18:19] neg_lo:[0,1] neg_hi:[0,1]
	s_nop 0
	v_pk_add_f32 v[2:3], v[2:3], v[4:5]
	v_pk_fma_f32 v[4:5], v[30:31], s[0:1], v[0:1] op_sel:[1,0,0] op_sel_hi:[0,0,1] neg_lo:[1,0,0] neg_hi:[1,0,0]
	v_pk_fma_f32 v[0:1], v[30:31], s[0:1], v[0:1] op_sel:[1,0,0] op_sel_hi:[0,0,1]
	v_pk_fma_f32 v[0:1], v[28:29], s[16:17], v[0:1] op_sel:[1,0,0] op_sel_hi:[0,0,1] neg_lo:[1,0,0] neg_hi:[1,0,0]
	v_pk_fma_f32 v[4:5], v[28:29], s[16:17], v[4:5] op_sel:[1,0,0] op_sel_hi:[0,0,1]
	v_mov_b32_e32 v6, v4
	v_mov_b32_e32 v7, v1
	;; [unrolled: 1-line block ×3, first 2 shown]
	v_pk_fma_f32 v[6:7], v[2:3], s[14:15], v[6:7] op_sel_hi:[1,0,1]
	v_pk_fma_f32 v[0:1], v[2:3], s[14:15], v[0:1] op_sel_hi:[1,0,1]
	ds_write2_b64 v10, v[0:1], v[6:7] offset0:60 offset1:90
	ds_write_b64 v10, v[52:53] offset:960
	v_add_u32_e32 v0, 0x2c00, v218
	s_waitcnt lgkmcnt(0)
	s_barrier
	ds_read2_b64 v[36:39], v218 offset1:90
	ds_read2_b64 v[44:47], v173 offset0:110 offset1:200
	ds_read2_b64 v[40:43], v0 offset0:92 offset1:182
	;; [unrolled: 1-line block ×11, first 2 shown]
	s_and_saveexec_b64 s[0:1], s[4:5]
	s_xor_b64 s[0:1], exec, s[0:1]
	s_or_saveexec_b64 s[0:1], s[0:1]
	v_mov_b32_e32 v180, v88
	v_mov_b32_e32 v181, v88
	;; [unrolled: 1-line block ×48, first 2 shown]
	s_xor_b64 exec, exec, s[0:1]
	s_cbranch_execz .LBB0_27
; %bb.26:
	ds_read_b64 v[54:55], v218 offset:17760
	ds_read_b64 v[50:51], v218 offset:11760
	;; [unrolled: 1-line block ×3, first 2 shown]
	s_waitcnt lgkmcnt(2)
	v_mov_b32_e32 v48, v54
	s_waitcnt lgkmcnt(1)
	v_mov_b32_e32 v49, v51
	v_mov_b32_e32 v51, v55
.LBB0_27:
	s_or_b64 exec, exec, s[0:1]
	s_waitcnt lgkmcnt(10)
	v_pk_mul_f32 v[88:89], v[88:89], v[44:45]
	s_waitcnt lgkmcnt(9)
	v_pk_mul_f32 v[90:91], v[90:91], v[40:41]
	v_pk_fma_f32 v[182:183], v[180:181], v[44:45], v[88:89] op_sel:[0,0,1] op_sel_hi:[1,1,0]
	v_pk_fma_f32 v[44:45], v[180:181], v[44:45], v[88:89] op_sel:[0,0,1] op_sel_hi:[1,1,0] neg_lo:[0,0,1] neg_hi:[0,0,1]
	s_mov_b32 s0, 0x3f5db3d7
	v_mov_b32_e32 v183, v45
	v_pk_fma_f32 v[44:45], v[178:179], v[40:41], v[90:91] op_sel:[0,0,1] op_sel_hi:[1,1,0]
	v_pk_fma_f32 v[40:41], v[178:179], v[40:41], v[90:91] op_sel:[0,0,1] op_sel_hi:[1,1,0] neg_lo:[0,0,1] neg_hi:[0,0,1]
	v_pk_mul_f32 v[104:105], v[104:105], v[46:47]
	v_mov_b32_e32 v45, v41
	v_pk_add_f32 v[40:41], v[182:183], v[44:45]
	v_pk_add_f32 v[88:89], v[182:183], v[44:45] neg_lo:[0,1] neg_hi:[0,1]
	v_pk_fma_f32 v[40:41], v[40:41], 0.5, v[36:37] op_sel_hi:[1,0,1] neg_lo:[1,0,0] neg_hi:[1,0,0]
	v_pk_mul_f32 v[88:89], v[88:89], s[0:1] op_sel_hi:[1,0]
	v_pk_add_f32 v[36:37], v[36:37], v[182:183]
	v_pk_add_f32 v[90:91], v[40:41], v[88:89] op_sel:[0,1] op_sel_hi:[1,0]
	v_pk_add_f32 v[40:41], v[40:41], v[88:89] op_sel:[0,1] op_sel_hi:[1,0] neg_lo:[0,1] neg_hi:[0,1]
	v_pk_add_f32 v[36:37], v[36:37], v[44:45]
	v_mov_b32_e32 v44, v40
	v_mov_b32_e32 v45, v91
	v_pk_mul_f32 v[106:107], v[106:107], v[42:43]
	s_waitcnt lgkmcnt(0)
	s_barrier
	ds_write2_b64 v218, v[36:37], v[44:45] offset1:150
	v_mov_b32_e32 v91, v41
	v_pk_fma_f32 v[36:37], v[176:177], v[46:47], v[104:105] op_sel:[0,0,1] op_sel_hi:[1,1,0]
	v_pk_fma_f32 v[40:41], v[176:177], v[46:47], v[104:105] op_sel:[0,0,1] op_sel_hi:[1,1,0] neg_lo:[0,0,1] neg_hi:[0,0,1]
	v_pk_mul_f32 v[100:101], v[100:101], v[32:33]
	v_mov_b32_e32 v37, v41
	v_pk_fma_f32 v[40:41], v[174:175], v[42:43], v[106:107] op_sel:[0,0,1] op_sel_hi:[1,1,0]
	v_pk_fma_f32 v[42:43], v[174:175], v[42:43], v[106:107] op_sel:[0,0,1] op_sel_hi:[1,1,0] neg_lo:[0,0,1] neg_hi:[0,0,1]
	v_pk_mul_f32 v[102:103], v[102:103], v[28:29]
	v_mov_b32_e32 v41, v43
	v_pk_add_f32 v[42:43], v[38:39], v[36:37]
	v_pk_add_f32 v[44:45], v[36:37], v[40:41]
	v_pk_add_f32 v[36:37], v[36:37], v[40:41] neg_lo:[0,1] neg_hi:[0,1]
	v_pk_fma_f32 v[38:39], v[44:45], 0.5, v[38:39] op_sel_hi:[1,0,1] neg_lo:[1,0,0] neg_hi:[1,0,0]
	v_pk_mul_f32 v[36:37], v[36:37], s[0:1] op_sel_hi:[1,0]
	v_pk_add_f32 v[42:43], v[42:43], v[40:41]
	v_pk_add_f32 v[40:41], v[38:39], v[36:37] op_sel:[0,1] op_sel_hi:[1,0] neg_lo:[0,1] neg_hi:[0,1]
	v_pk_add_f32 v[36:37], v[38:39], v[36:37] op_sel:[0,1] op_sel_hi:[1,0]
	v_mov_b32_e32 v38, v40
	v_mov_b32_e32 v39, v37
	v_accvgpr_read_b32 v40, a5
	v_mov_b32_e32 v37, v41
	ds_write_b64 v218, v[90:91] offset:2400
	ds_write_b64 v40, v[36:37] offset:2400
	v_pk_fma_f32 v[36:37], v[172:173], v[32:33], v[100:101] op_sel:[0,0,1] op_sel_hi:[1,1,0]
	v_pk_fma_f32 v[32:33], v[172:173], v[32:33], v[100:101] op_sel:[0,0,1] op_sel_hi:[1,1,0] neg_lo:[0,0,1] neg_hi:[0,0,1]
	ds_write2_b64 v40, v[42:43], v[38:39] offset1:150
	v_mov_b32_e32 v37, v33
	v_pk_fma_f32 v[32:33], v[170:171], v[28:29], v[102:103] op_sel:[0,0,1] op_sel_hi:[1,1,0]
	v_pk_fma_f32 v[28:29], v[170:171], v[28:29], v[102:103] op_sel:[0,0,1] op_sel_hi:[1,1,0] neg_lo:[0,0,1] neg_hi:[0,0,1]
	v_pk_mul_f32 v[132:133], v[132:133], v[34:35]
	v_mov_b32_e32 v33, v29
	v_pk_add_f32 v[28:29], v[36:37], v[32:33]
	v_pk_add_f32 v[38:39], v[36:37], v[32:33] neg_lo:[0,1] neg_hi:[0,1]
	v_pk_fma_f32 v[28:29], v[28:29], 0.5, v[24:25] op_sel_hi:[1,0,1] neg_lo:[1,0,0] neg_hi:[1,0,0]
	v_pk_mul_f32 v[38:39], v[38:39], s[0:1] op_sel_hi:[1,0]
	v_pk_add_f32 v[24:25], v[24:25], v[36:37]
	v_pk_add_f32 v[40:41], v[28:29], v[38:39] op_sel:[0,1] op_sel_hi:[1,0]
	v_pk_add_f32 v[28:29], v[28:29], v[38:39] op_sel:[0,1] op_sel_hi:[1,0] neg_lo:[0,1] neg_hi:[0,1]
	v_pk_add_f32 v[32:33], v[24:25], v[32:33]
	v_mov_b32_e32 v36, v28
	v_mov_b32_e32 v37, v41
	v_add_u32_e32 v24, 0xc00, v218
	v_pk_mul_f32 v[134:135], v[134:135], v[30:31]
	ds_write2_b64 v24, v[32:33], v[36:37] offset0:96 offset1:246
	v_mov_b32_e32 v41, v29
	v_pk_fma_f32 v[28:29], v[168:169], v[34:35], v[132:133] op_sel:[0,0,1] op_sel_hi:[1,1,0]
	v_pk_fma_f32 v[32:33], v[168:169], v[34:35], v[132:133] op_sel:[0,0,1] op_sel_hi:[1,1,0] neg_lo:[0,0,1] neg_hi:[0,0,1]
	v_pk_mul_f32 v[128:129], v[128:129], v[20:21]
	v_mov_b32_e32 v29, v33
	v_pk_fma_f32 v[32:33], v[166:167], v[30:31], v[134:135] op_sel:[0,0,1] op_sel_hi:[1,1,0]
	v_pk_fma_f32 v[30:31], v[166:167], v[30:31], v[134:135] op_sel:[0,0,1] op_sel_hi:[1,1,0] neg_lo:[0,0,1] neg_hi:[0,0,1]
	v_accvgpr_read_b32 v25, a93
	v_mov_b32_e32 v33, v31
	v_pk_add_f32 v[30:31], v[28:29], v[32:33]
	v_pk_add_f32 v[34:35], v[28:29], v[32:33] neg_lo:[0,1] neg_hi:[0,1]
	v_pk_fma_f32 v[30:31], v[30:31], 0.5, v[26:27] op_sel_hi:[1,0,1] neg_lo:[1,0,0] neg_hi:[1,0,0]
	v_pk_mul_f32 v[34:35], v[34:35], s[0:1] op_sel_hi:[1,0]
	v_pk_add_f32 v[26:27], v[26:27], v[28:29]
	v_pk_add_f32 v[36:37], v[30:31], v[34:35] op_sel:[0,1] op_sel_hi:[1,0]
	v_pk_add_f32 v[30:31], v[30:31], v[34:35] op_sel:[0,1] op_sel_hi:[1,0] neg_lo:[0,1] neg_hi:[0,1]
	v_pk_add_f32 v[26:27], v[26:27], v[32:33]
	v_mov_b32_e32 v28, v30
	v_mov_b32_e32 v29, v37
	v_pk_mul_f32 v[130:131], v[130:131], v[16:17]
	ds_write_b64 v218, v[40:41] offset:6240
	ds_write2_b64 v25, v[26:27], v[28:29] offset1:150
	v_pk_fma_f32 v[26:27], v[164:165], v[20:21], v[128:129] op_sel:[0,0,1] op_sel_hi:[1,1,0]
	v_pk_fma_f32 v[20:21], v[164:165], v[20:21], v[128:129] op_sel:[0,0,1] op_sel_hi:[1,1,0] neg_lo:[0,0,1] neg_hi:[0,0,1]
	v_mov_b32_e32 v37, v31
	v_mov_b32_e32 v27, v21
	v_pk_fma_f32 v[20:21], v[162:163], v[16:17], v[130:131] op_sel:[0,0,1] op_sel_hi:[1,1,0]
	v_pk_fma_f32 v[16:17], v[162:163], v[16:17], v[130:131] op_sel:[0,0,1] op_sel_hi:[1,1,0] neg_lo:[0,0,1] neg_hi:[0,0,1]
	ds_write_b64 v25, v[36:37] offset:2400
	v_mov_b32_e32 v21, v17
	v_pk_add_f32 v[16:17], v[26:27], v[20:21]
	v_pk_add_f32 v[28:29], v[26:27], v[20:21] neg_lo:[0,1] neg_hi:[0,1]
	v_pk_fma_f32 v[16:17], v[16:17], 0.5, v[12:13] op_sel_hi:[1,0,1] neg_lo:[1,0,0] neg_hi:[1,0,0]
	v_pk_mul_f32 v[28:29], v[28:29], s[0:1] op_sel_hi:[1,0]
	v_pk_add_f32 v[12:13], v[12:13], v[26:27]
	v_pk_add_f32 v[30:31], v[16:17], v[28:29] op_sel:[0,1] op_sel_hi:[1,0]
	v_pk_add_f32 v[16:17], v[16:17], v[28:29] op_sel:[0,1] op_sel_hi:[1,0] neg_lo:[0,1] neg_hi:[0,1]
	v_accvgpr_read_b32 v25, a98
	v_pk_mul_f32 v[120:121], v[120:121], v[22:23]
	v_pk_add_f32 v[12:13], v[12:13], v[20:21]
	v_mov_b32_e32 v20, v16
	v_mov_b32_e32 v21, v31
	v_add_u32_e32 v16, 0x1c00, v25
	v_pk_mul_f32 v[122:123], v[122:123], v[18:19]
	ds_write2_b64 v16, v[12:13], v[20:21] offset0:4 offset1:154
	v_mov_b32_e32 v31, v17
	v_pk_fma_f32 v[12:13], v[146:147], v[22:23], v[120:121] op_sel:[0,0,1] op_sel_hi:[1,1,0]
	v_pk_fma_f32 v[16:17], v[146:147], v[22:23], v[120:121] op_sel:[0,0,1] op_sel_hi:[1,1,0] neg_lo:[0,0,1] neg_hi:[0,0,1]
	v_pk_mul_f32 v[116:117], v[116:117], v[8:9]
	v_mov_b32_e32 v13, v17
	v_pk_fma_f32 v[16:17], v[144:145], v[18:19], v[122:123] op_sel:[0,0,1] op_sel_hi:[1,1,0]
	v_pk_fma_f32 v[18:19], v[144:145], v[18:19], v[122:123] op_sel:[0,0,1] op_sel_hi:[1,1,0] neg_lo:[0,0,1] neg_hi:[0,0,1]
	v_pk_mul_f32 v[118:119], v[118:119], v[4:5]
	v_mov_b32_e32 v17, v19
	v_pk_add_f32 v[18:19], v[12:13], v[16:17]
	v_pk_add_f32 v[20:21], v[12:13], v[16:17] neg_lo:[0,1] neg_hi:[0,1]
	v_pk_fma_f32 v[18:19], v[18:19], 0.5, v[14:15] op_sel_hi:[1,0,1] neg_lo:[1,0,0] neg_hi:[1,0,0]
	v_pk_mul_f32 v[20:21], v[20:21], s[0:1] op_sel_hi:[1,0]
	v_pk_add_f32 v[12:13], v[14:15], v[12:13]
	v_pk_add_f32 v[22:23], v[18:19], v[20:21] op_sel:[0,1] op_sel_hi:[1,0]
	v_pk_add_f32 v[18:19], v[18:19], v[20:21] op_sel:[0,1] op_sel_hi:[1,0] neg_lo:[0,1] neg_hi:[0,1]
	v_pk_add_f32 v[12:13], v[12:13], v[16:17]
	v_accvgpr_read_b32 v17, a99
	v_mov_b32_e32 v14, v18
	v_mov_b32_e32 v15, v23
	v_add_u32_e32 v16, 0x2800, v17
	ds_write2_b64 v16, v[12:13], v[14:15] offset0:70 offset1:220
	v_pk_fma_f32 v[12:13], v[138:139], v[8:9], v[116:117] op_sel:[0,0,1] op_sel_hi:[1,1,0]
	v_pk_fma_f32 v[8:9], v[138:139], v[8:9], v[116:117] op_sel:[0,0,1] op_sel_hi:[1,1,0] neg_lo:[0,0,1] neg_hi:[0,0,1]
	v_mov_b32_e32 v23, v19
	v_mov_b32_e32 v13, v9
	v_pk_fma_f32 v[8:9], v[136:137], v[4:5], v[118:119] op_sel:[0,0,1] op_sel_hi:[1,1,0]
	v_pk_fma_f32 v[4:5], v[136:137], v[4:5], v[118:119] op_sel:[0,0,1] op_sel_hi:[1,1,0] neg_lo:[0,0,1] neg_hi:[0,0,1]
	ds_write_b64 v17, v[22:23] offset:13200
	v_mov_b32_e32 v9, v5
	v_pk_add_f32 v[4:5], v[12:13], v[8:9]
	v_pk_add_f32 v[14:15], v[12:13], v[8:9] neg_lo:[0,1] neg_hi:[0,1]
	v_pk_fma_f32 v[4:5], v[4:5], 0.5, v[0:1] op_sel_hi:[1,0,1] neg_lo:[1,0,0] neg_hi:[1,0,0]
	v_pk_mul_f32 v[14:15], v[14:15], s[0:1] op_sel_hi:[1,0]
	v_pk_add_f32 v[0:1], v[0:1], v[12:13]
	v_pk_add_f32 v[16:17], v[4:5], v[14:15] op_sel:[0,1] op_sel_hi:[1,0]
	v_pk_add_f32 v[4:5], v[4:5], v[14:15] op_sel:[0,1] op_sel_hi:[1,0] neg_lo:[0,1] neg_hi:[0,1]
	v_pk_mul_f32 v[112:113], v[112:113], v[10:11]
	v_pk_add_f32 v[0:1], v[0:1], v[8:9]
	v_mov_b32_e32 v8, v4
	v_mov_b32_e32 v9, v17
	v_accvgpr_read_b32 v4, a100
	v_mov_b32_e32 v17, v5
	v_pk_mul_f32 v[114:115], v[114:115], v[6:7]
	ds_write_b64 v25, v[30:31] offset:9600
	ds_write2_b64 v4, v[0:1], v[8:9] offset1:150
	ds_write_b64 v4, v[16:17] offset:2400
	v_pk_fma_f32 v[0:1], v[86:87], v[10:11], v[112:113] op_sel:[0,0,1] op_sel_hi:[1,1,0]
	v_pk_fma_f32 v[4:5], v[86:87], v[10:11], v[112:113] op_sel:[0,0,1] op_sel_hi:[1,1,0] neg_lo:[0,0,1] neg_hi:[0,0,1]
	v_mov_b32_e32 v68, v124
	v_mov_b32_e32 v1, v5
	v_pk_fma_f32 v[4:5], v[84:85], v[6:7], v[114:115] op_sel:[0,0,1] op_sel_hi:[1,1,0]
	v_pk_fma_f32 v[6:7], v[84:85], v[6:7], v[114:115] op_sel:[0,0,1] op_sel_hi:[1,1,0] neg_lo:[0,0,1] neg_hi:[0,0,1]
	v_mov_b32_e32 v69, v124
	v_mov_b32_e32 v5, v7
	v_pk_add_f32 v[6:7], v[0:1], v[4:5]
	v_pk_add_f32 v[8:9], v[0:1], v[4:5] neg_lo:[0,1] neg_hi:[0,1]
	v_pk_fma_f32 v[6:7], v[6:7], 0.5, v[2:3] op_sel_hi:[1,0,1] neg_lo:[1,0,0] neg_hi:[1,0,0]
	v_pk_mul_f32 v[8:9], v[8:9], s[0:1] op_sel_hi:[1,0]
	v_pk_add_f32 v[0:1], v[2:3], v[0:1]
	v_pk_add_f32 v[10:11], v[6:7], v[8:9] op_sel:[0,1] op_sel_hi:[1,0]
	v_pk_add_f32 v[6:7], v[6:7], v[8:9] op_sel:[0,1] op_sel_hi:[1,0] neg_lo:[0,1] neg_hi:[0,1]
	v_pk_add_f32 v[0:1], v[0:1], v[4:5]
	v_accvgpr_read_b32 v5, a102
	v_mov_b32_e32 v124, v125
	v_mov_b32_e32 v64, v126
	;; [unrolled: 1-line block ×48, first 2 shown]
	v_add_u32_e32 v4, 0x3800, v5
	v_mov_b32_e32 v11, v7
	ds_write2_b64 v4, v[0:1], v[2:3] offset0:8 offset1:158
	ds_write_b64 v5, v[10:11] offset:16800
	s_and_saveexec_b64 s[4:5], s[2:3]
	s_cbranch_execz .LBB0_29
; %bb.28:
	v_accvgpr_read_b32 v6, a84
	v_accvgpr_read_b32 v7, a85
	;; [unrolled: 1-line block ×4, first 2 shown]
	v_pk_mul_f32 v[0:1], v[6:7], v[48:49] op_sel:[0,1]
	v_pk_mul_f32 v[2:3], v[8:9], v[50:51] op_sel:[0,1]
	v_pk_fma_f32 v[4:5], v[6:7], v[50:51], v[0:1] op_sel:[0,0,1] op_sel_hi:[1,1,0]
	v_pk_fma_f32 v[0:1], v[6:7], v[50:51], v[0:1] op_sel:[0,0,1] op_sel_hi:[1,0,0] neg_lo:[1,0,0] neg_hi:[1,0,0]
	s_nop 0
	v_mov_b32_e32 v5, v1
	v_pk_fma_f32 v[0:1], v[8:9], v[48:49], v[2:3] op_sel:[0,0,1] op_sel_hi:[1,1,0]
	v_pk_fma_f32 v[2:3], v[8:9], v[48:49], v[2:3] op_sel:[0,0,1] op_sel_hi:[1,0,0] neg_lo:[1,0,0] neg_hi:[1,0,0]
	s_nop 0
	v_mov_b32_e32 v1, v3
	v_pk_add_f32 v[2:3], v[4:5], v[0:1]
	v_pk_add_f32 v[6:7], v[4:5], v[0:1] neg_lo:[0,1] neg_hi:[0,1]
	v_pk_fma_f32 v[2:3], -0.5, v[2:3], v[52:53] op_sel_hi:[0,1,1]
	v_pk_mul_f32 v[6:7], v[6:7], s[0:1] op_sel_hi:[1,0]
	v_pk_add_f32 v[4:5], v[52:53], v[4:5]
	v_pk_add_f32 v[8:9], v[2:3], v[6:7] op_sel:[0,1] op_sel_hi:[1,0]
	v_pk_add_f32 v[2:3], v[2:3], v[6:7] op_sel:[0,1] op_sel_hi:[1,0] neg_lo:[0,1] neg_hi:[0,1]
	v_accvgpr_read_b32 v6, a101
	v_pk_add_f32 v[0:1], v[4:5], v[0:1]
	v_mov_b32_e32 v4, v2
	v_mov_b32_e32 v5, v9
	v_add_u32_e32 v2, 0x3800, v6
	v_mov_b32_e32 v9, v3
	ds_write2_b64 v2, v[0:1], v[4:5] offset0:8 offset1:158
	ds_write_b64 v6, v[8:9] offset:16800
.LBB0_29:
	s_or_b64 exec, exec, s[4:5]
	v_accvgpr_read_b32 v2, a44
	v_mad_u64_u32 v[6:7], s[0:1], s10, v2, 0
	v_mov_b32_e32 v0, v7
	v_add_u32_e32 v7, 0x800, v218
	v_mad_u64_u32 v[8:9], s[0:1], s11, v2, v[0:1]
	s_waitcnt lgkmcnt(0)
	s_barrier
	ds_read2_b64 v[0:3], v7 offset0:104 offset1:194
	v_add_u32_e32 v25, 0x1800, v218
	ds_read2_b64 v[14:17], v25 offset0:132 offset1:222
	v_add_u32_e32 v9, 0x2400, v218
	ds_read2_b64 v[18:21], v9 offset0:108 offset1:198
	s_waitcnt lgkmcnt(2)
	v_pk_mul_f32 v[22:23], v[156:157], v[2:3]
	v_add_u32_e32 v9, 0x3800, v218
	v_pk_fma_f32 v[38:39], v[82:83], v[2:3], v[22:23] op_sel:[0,0,1] op_sel_hi:[1,1,0]
	v_pk_fma_f32 v[2:3], v[82:83], v[2:3], v[22:23] op_sel:[0,0,1] op_sel_hi:[1,1,0] neg_lo:[0,0,1] neg_hi:[0,0,1]
	v_add_u32_e32 v82, 0x1000, v218
	v_mov_b32_e32 v39, v3
	s_waitcnt lgkmcnt(1)
	v_pk_mul_f32 v[2:3], v[158:159], v[14:15]
	v_add_u32_e32 v83, 0x2800, v218
	v_pk_fma_f32 v[40:41], v[78:79], v[14:15], v[2:3] op_sel:[0,0,1] op_sel_hi:[1,1,0]
	v_pk_fma_f32 v[2:3], v[78:79], v[14:15], v[2:3] op_sel:[0,0,1] op_sel_hi:[1,1,0] neg_lo:[0,0,1] neg_hi:[0,0,1]
	ds_read2_b64 v[30:33], v83 offset0:160 offset1:250
	v_mov_b32_e32 v41, v3
	s_waitcnt lgkmcnt(1)
	v_pk_mul_f32 v[2:3], v[152:153], v[20:21]
	ds_read2_b64 v[26:29], v9 offset0:8 offset1:98
	v_pk_fma_f32 v[42:43], v[74:75], v[20:21], v[2:3] op_sel:[0,0,1] op_sel_hi:[1,1,0]
	v_pk_fma_f32 v[2:3], v[74:75], v[20:21], v[2:3] op_sel:[0,0,1] op_sel_hi:[1,1,0] neg_lo:[0,0,1] neg_hi:[0,0,1]
	ds_read2_b64 v[20:23], v82 offset0:28 offset1:118
	ds_read2_b64 v[10:13], v218 offset1:90
	v_mov_b32_e32 v43, v3
	s_waitcnt lgkmcnt(2)
	v_pk_mul_f32 v[2:3], v[154:155], v[26:27]
	v_add_u32_e32 v84, 0x3c00, v218
	s_waitcnt lgkmcnt(1)
	v_pk_mul_f32 v[14:15], v[148:149], v[20:21]
	v_pk_fma_f32 v[44:45], v[70:71], v[26:27], v[2:3] op_sel:[0,0,1] op_sel_hi:[1,1,0]
	v_pk_fma_f32 v[46:47], v[160:161], v[20:21], v[14:15] op_sel:[0,0,1] op_sel_hi:[1,1,0]
	v_pk_fma_f32 v[14:15], v[160:161], v[20:21], v[14:15] op_sel:[0,0,1] op_sel_hi:[1,1,0] neg_lo:[0,0,1] neg_hi:[0,0,1]
	v_pk_fma_f32 v[2:3], v[70:71], v[26:27], v[2:3] op_sel:[0,0,1] op_sel_hi:[1,1,0] neg_lo:[0,0,1] neg_hi:[0,0,1]
	v_mov_b32_e32 v47, v15
	v_pk_mul_f32 v[14:15], v[150:151], v[16:17]
	v_pk_mul_f32 v[20:21], v[124:125], v[22:23]
	v_pk_fma_f32 v[48:49], v[80:81], v[16:17], v[14:15] op_sel:[0,0,1] op_sel_hi:[1,1,0]
	v_pk_fma_f32 v[14:15], v[80:81], v[16:17], v[14:15] op_sel:[0,0,1] op_sel_hi:[1,1,0] neg_lo:[0,0,1] neg_hi:[0,0,1]
	v_add_u32_e32 v81, 0x2000, v218
	v_mov_b32_e32 v49, v15
	v_pk_mul_f32 v[14:15], v[140:141], v[30:31]
	ds_read2_b64 v[34:37], v84 offset0:60 offset1:150
	v_pk_fma_f32 v[50:51], v[76:77], v[30:31], v[14:15] op_sel:[0,0,1] op_sel_hi:[1,1,0]
	v_pk_fma_f32 v[14:15], v[76:77], v[30:31], v[14:15] op_sel:[0,0,1] op_sel_hi:[1,1,0] neg_lo:[0,0,1] neg_hi:[0,0,1]
	v_add_u32_e32 v80, 0x400, v218
	v_mov_b32_e32 v51, v15
	v_pk_mul_f32 v[14:15], v[142:143], v[28:29]
	v_mov_b32_e32 v45, v3
	v_pk_fma_f32 v[52:53], v[72:73], v[28:29], v[14:15] op_sel:[0,0,1] op_sel_hi:[1,1,0]
	v_pk_fma_f32 v[14:15], v[72:73], v[28:29], v[14:15] op_sel:[0,0,1] op_sel_hi:[1,1,0] neg_lo:[0,0,1] neg_hi:[0,0,1]
	ds_read2_b64 v[26:29], v81 offset0:56 offset1:146
	v_mov_b32_e32 v53, v15
	s_waitcnt lgkmcnt(2)
	v_pk_add_f32 v[14:15], v[12:13], v[46:47]
	v_pk_fma_f32 v[72:73], v[68:69], v[22:23], v[20:21] op_sel:[0,0,1] op_sel_hi:[1,1,0]
	v_pk_add_f32 v[14:15], v[14:15], v[48:49]
	v_pk_fma_f32 v[20:21], v[68:69], v[22:23], v[20:21] op_sel:[0,0,1] op_sel_hi:[1,1,0] neg_lo:[0,0,1] neg_hi:[0,0,1]
	v_pk_add_f32 v[14:15], v[14:15], v[50:51]
	v_mov_b32_e32 v73, v21
	s_waitcnt lgkmcnt(0)
	v_pk_mul_f32 v[20:21], v[126:127], v[26:27]
	v_pk_add_f32 v[70:71], v[14:15], v[52:53]
	ds_read2_b64 v[14:17], v80 offset0:52 offset1:142
	v_pk_fma_f32 v[68:69], v[64:65], v[26:27], v[20:21] op_sel:[0,0,1] op_sel_hi:[1,1,0]
	v_pk_fma_f32 v[20:21], v[64:65], v[26:27], v[20:21] op_sel:[0,0,1] op_sel_hi:[1,1,0] neg_lo:[0,0,1] neg_hi:[0,0,1]
	v_pk_add_f32 v[2:3], v[10:11], v[38:39]
	v_mov_b32_e32 v69, v21
	v_pk_mul_f32 v[20:21], v[108:109], v[32:33]
	v_pk_add_f32 v[2:3], v[2:3], v[40:41]
	v_pk_fma_f32 v[26:27], v[60:61], v[32:33], v[20:21] op_sel:[0,0,1] op_sel_hi:[1,1,0]
	v_pk_fma_f32 v[20:21], v[60:61], v[32:33], v[20:21] op_sel:[0,0,1] op_sel_hi:[1,1,0] neg_lo:[0,0,1] neg_hi:[0,0,1]
	v_pk_add_f32 v[2:3], v[2:3], v[42:43]
	v_mov_b32_e32 v27, v21
	v_pk_mul_f32 v[20:21], v[110:111], v[34:35]
	v_pk_add_f32 v[2:3], v[2:3], v[44:45]
	v_pk_fma_f32 v[60:61], v[56:57], v[34:35], v[20:21] op_sel:[0,0,1] op_sel_hi:[1,1,0]
	v_pk_fma_f32 v[20:21], v[56:57], v[34:35], v[20:21] op_sel:[0,0,1] op_sel_hi:[1,1,0] neg_lo:[0,0,1] neg_hi:[0,0,1]
	ds_write_b64 v218, v[2:3]
	v_mov_b32_e32 v61, v21
	s_waitcnt lgkmcnt(1)
	v_pk_add_f32 v[20:21], v[14:15], v[72:73]
	v_add_u32_e32 v2, 0x1400, v218
	v_pk_add_f32 v[30:31], v[20:21], v[68:69]
	ds_read2_b64 v[20:23], v2 offset0:80 offset1:170
	v_add_u32_e32 v85, 0x3000, v218
	v_pk_add_f32 v[2:3], v[30:31], v[26:27]
	ds_read2_b64 v[30:33], v85 offset0:84 offset1:174
	s_mov_b32 s2, 0x3f737871
	s_waitcnt lgkmcnt(1)
	v_pk_mul_f32 v[34:35], v[96:97], v[20:21]
	s_mov_b32 s4, 0x3f167918
	v_pk_fma_f32 v[56:57], v[66:67], v[20:21], v[34:35] op_sel:[0,0,1] op_sel_hi:[1,1,0]
	v_pk_fma_f32 v[20:21], v[66:67], v[20:21], v[34:35] op_sel:[0,0,1] op_sel_hi:[1,1,0] neg_lo:[0,0,1] neg_hi:[0,0,1]
	v_pk_add_f32 v[66:67], v[40:41], v[42:43] neg_lo:[0,1] neg_hi:[0,1]
	v_mov_b32_e32 v57, v21
	v_pk_mul_f32 v[20:21], v[98:99], v[28:29]
	v_pk_add_f32 v[76:77], v[38:39], v[40:41] neg_lo:[0,1] neg_hi:[0,1]
	v_pk_fma_f32 v[34:35], v[62:63], v[28:29], v[20:21] op_sel:[0,0,1] op_sel_hi:[1,1,0]
	v_pk_fma_f32 v[20:21], v[62:63], v[28:29], v[20:21] op_sel:[0,0,1] op_sel_hi:[1,1,0] neg_lo:[0,0,1] neg_hi:[0,0,1]
	v_accvgpr_read_b32 v62, a94
	v_mov_b32_e32 v35, v21
	s_waitcnt lgkmcnt(0)
	v_pk_mul_f32 v[20:21], v[92:93], v[30:31]
	v_accvgpr_read_b32 v63, a95
	v_pk_fma_f32 v[28:29], v[58:59], v[30:31], v[20:21] op_sel:[0,0,1] op_sel_hi:[1,1,0]
	v_pk_fma_f32 v[20:21], v[58:59], v[30:31], v[20:21] op_sel:[0,0,1] op_sel_hi:[1,1,0] neg_lo:[0,0,1] neg_hi:[0,0,1]
	v_accvgpr_read_b32 v64, a96
	v_mov_b32_e32 v29, v21
	v_pk_mul_f32 v[20:21], v[94:95], v[36:37]
	v_accvgpr_read_b32 v65, a97
	v_pk_fma_f32 v[30:31], v[54:55], v[36:37], v[20:21] op_sel:[0,0,1] op_sel_hi:[1,1,0]
	v_pk_fma_f32 v[20:21], v[54:55], v[36:37], v[20:21] op_sel:[0,0,1] op_sel_hi:[1,1,0] neg_lo:[0,0,1] neg_hi:[0,0,1]
	v_pk_mul_f32 v[54:55], v[62:63], v[22:23] op_sel:[1,0]
	ds_read_b64 v[36:37], v218 offset:17280
	v_pk_fma_f32 v[58:59], v[62:63], v[22:23], v[54:55] op_sel:[0,0,1] op_sel_hi:[1,1,0]
	v_pk_fma_f32 v[22:23], v[62:63], v[22:23], v[54:55] op_sel:[0,0,1] op_sel_hi:[0,1,0] neg_lo:[0,0,1] neg_hi:[0,0,1]
	v_mov_b32_e32 v59, v23
	v_pk_mul_f32 v[22:23], v[64:65], v[18:19] op_sel:[1,0]
	v_pk_add_f32 v[78:79], v[44:45], v[42:43] neg_lo:[0,1] neg_hi:[0,1]
	v_pk_fma_f32 v[54:55], v[64:65], v[18:19], v[22:23] op_sel:[0,0,1] op_sel_hi:[1,1,0]
	v_pk_fma_f32 v[18:19], v[64:65], v[18:19], v[22:23] op_sel:[0,0,1] op_sel_hi:[0,1,0] neg_lo:[0,0,1] neg_hi:[0,0,1]
	v_accvgpr_read_b32 v62, a88
	v_accvgpr_read_b32 v63, a89
	v_mov_b32_e32 v55, v19
	v_pk_mul_f32 v[18:19], v[62:63], v[32:33] op_sel:[1,0]
	v_accvgpr_read_b32 v64, a90
	v_accvgpr_read_b32 v65, a91
	v_pk_fma_f32 v[22:23], v[62:63], v[32:33], v[18:19] op_sel:[0,0,1] op_sel_hi:[1,1,0]
	v_pk_fma_f32 v[18:19], v[62:63], v[32:33], v[18:19] op_sel:[0,0,1] op_sel_hi:[0,1,0] neg_lo:[0,0,1] neg_hi:[0,0,1]
	v_mov_b32_e32 v23, v19
	s_waitcnt lgkmcnt(0)
	v_pk_mul_f32 v[18:19], v[64:65], v[36:37] op_sel:[1,0]
	v_pk_add_f32 v[62:63], v[38:39], v[44:45] neg_lo:[0,1] neg_hi:[0,1]
	v_pk_fma_f32 v[32:33], v[64:65], v[36:37], v[18:19] op_sel:[0,0,1] op_sel_hi:[1,1,0]
	v_pk_fma_f32 v[18:19], v[64:65], v[36:37], v[18:19] op_sel:[0,0,1] op_sel_hi:[0,1,0] neg_lo:[0,0,1] neg_hi:[0,0,1]
	v_pk_add_f32 v[36:37], v[40:41], v[42:43]
	v_pk_mul_f32 v[64:65], v[62:63], s[2:3] op_sel_hi:[1,0]
	v_pk_fma_f32 v[36:37], v[36:37], 0.5, v[10:11] op_sel_hi:[1,0,1] neg_lo:[1,0,0] neg_hi:[1,0,0]
	v_pk_mul_f32 v[74:75], v[66:67], s[4:5] op_sel_hi:[1,0]
	v_pk_add_f32 v[76:77], v[76:77], v[78:79]
	v_pk_add_f32 v[78:79], v[36:37], v[64:65] op_sel:[0,1] op_sel_hi:[1,0] neg_lo:[0,1] neg_hi:[0,1]
	v_pk_add_f32 v[36:37], v[36:37], v[64:65] op_sel:[0,1] op_sel_hi:[1,0]
	v_pk_add_f32 v[64:65], v[78:79], v[74:75] op_sel:[0,1] op_sel_hi:[1,0] neg_lo:[0,1] neg_hi:[0,1]
	v_pk_add_f32 v[78:79], v[38:39], v[44:45]
	v_pk_add_f32 v[38:39], v[40:41], v[38:39] neg_lo:[0,1] neg_hi:[0,1]
	v_pk_add_f32 v[40:41], v[42:43], v[44:45] neg_lo:[0,1] neg_hi:[0,1]
	v_pk_fma_f32 v[10:11], v[78:79], 0.5, v[10:11] op_sel_hi:[1,0,1] neg_lo:[1,0,0] neg_hi:[1,0,0]
	v_pk_add_f32 v[38:39], v[38:39], v[40:41]
	v_pk_mul_f32 v[40:41], v[66:67], s[2:3] op_sel_hi:[1,0]
	v_pk_mul_f32 v[42:43], v[62:63], s[4:5] op_sel_hi:[1,0]
	v_pk_add_f32 v[44:45], v[10:11], v[40:41] op_sel:[0,1] op_sel_hi:[1,0]
	v_pk_add_f32 v[10:11], v[10:11], v[40:41] op_sel:[0,1] op_sel_hi:[1,0] neg_lo:[0,1] neg_hi:[0,1]
	v_pk_add_f32 v[40:41], v[44:45], v[42:43] op_sel:[0,1] op_sel_hi:[1,0] neg_lo:[0,1] neg_hi:[0,1]
	v_pk_add_f32 v[10:11], v[10:11], v[42:43] op_sel:[0,1] op_sel_hi:[1,0]
	s_mov_b32 s0, 0x3e9e377a
	v_pk_add_f32 v[36:37], v[36:37], v[74:75] op_sel:[0,1] op_sel_hi:[1,0]
	v_mov_b32_e32 v42, v40
	v_mov_b32_e32 v43, v11
	;; [unrolled: 1-line block ×5, first 2 shown]
	v_pk_fma_f32 v[42:43], v[38:39], s[0:1], v[42:43] op_sel_hi:[1,0,1]
	v_pk_fma_f32 v[10:11], v[38:39], s[0:1], v[10:11] op_sel_hi:[1,0,1]
	v_mov_b32_e32 v37, v65
	v_pk_add_f32 v[38:39], v[48:49], v[50:51]
	v_pk_add_f32 v[40:41], v[46:47], v[52:53] neg_lo:[0,1] neg_hi:[0,1]
	v_pk_fma_f32 v[74:75], v[76:77], s[0:1], v[74:75] op_sel_hi:[1,0,1]
	v_pk_fma_f32 v[36:37], v[76:77], s[0:1], v[36:37] op_sel_hi:[1,0,1]
	v_pk_fma_f32 v[38:39], v[38:39], 0.5, v[12:13] op_sel_hi:[1,0,1] neg_lo:[1,0,0] neg_hi:[1,0,0]
	v_pk_mul_f32 v[44:45], v[40:41], s[2:3] op_sel_hi:[1,0]
	v_pk_add_f32 v[62:63], v[48:49], v[50:51] neg_lo:[0,1] neg_hi:[0,1]
	v_pk_add_f32 v[66:67], v[46:47], v[48:49] neg_lo:[0,1] neg_hi:[0,1]
	v_pk_add_f32 v[76:77], v[52:53], v[50:51] neg_lo:[0,1] neg_hi:[0,1]
	v_pk_mul_f32 v[64:65], v[62:63], s[4:5] op_sel_hi:[1,0]
	v_pk_add_f32 v[66:67], v[66:67], v[76:77]
	v_pk_add_f32 v[76:77], v[38:39], v[44:45] op_sel:[0,1] op_sel_hi:[1,0] neg_lo:[0,1] neg_hi:[0,1]
	v_pk_add_f32 v[38:39], v[38:39], v[44:45] op_sel:[0,1] op_sel_hi:[1,0]
	v_pk_add_f32 v[44:45], v[76:77], v[64:65] op_sel:[0,1] op_sel_hi:[1,0] neg_lo:[0,1] neg_hi:[0,1]
	v_pk_add_f32 v[38:39], v[38:39], v[64:65] op_sel:[0,1] op_sel_hi:[1,0]
	v_mov_b32_e32 v64, v44
	v_mov_b32_e32 v65, v39
	v_pk_fma_f32 v[64:65], v[66:67], s[0:1], v[64:65] op_sel_hi:[1,0,1]
	ds_write2_b64 v24, v[74:75], v[64:65] offset0:66 offset1:156
	v_pk_add_f32 v[64:65], v[46:47], v[52:53]
	v_pk_add_f32 v[46:47], v[48:49], v[46:47] neg_lo:[0,1] neg_hi:[0,1]
	v_pk_add_f32 v[48:49], v[50:51], v[52:53] neg_lo:[0,1] neg_hi:[0,1]
	v_pk_fma_f32 v[12:13], v[64:65], 0.5, v[12:13] op_sel_hi:[1,0,1] neg_lo:[1,0,0] neg_hi:[1,0,0]
	v_pk_add_f32 v[46:47], v[46:47], v[48:49]
	v_pk_mul_f32 v[48:49], v[62:63], s[2:3] op_sel_hi:[1,0]
	v_pk_mul_f32 v[40:41], v[40:41], s[4:5] op_sel_hi:[1,0]
	v_pk_add_f32 v[50:51], v[12:13], v[48:49] op_sel:[0,1] op_sel_hi:[1,0]
	v_pk_add_f32 v[12:13], v[12:13], v[48:49] op_sel:[0,1] op_sel_hi:[1,0] neg_lo:[0,1] neg_hi:[0,1]
	v_mov_b32_e32 v39, v45
	v_pk_add_f32 v[12:13], v[12:13], v[40:41] op_sel:[0,1] op_sel_hi:[1,0]
	v_pk_add_f32 v[40:41], v[50:51], v[40:41] op_sel:[0,1] op_sel_hi:[1,0] neg_lo:[0,1] neg_hi:[0,1]
	v_mov_b32_e32 v49, v13
	v_mov_b32_e32 v13, v41
	;; [unrolled: 1-line block ×3, first 2 shown]
	v_pk_fma_f32 v[12:13], v[46:47], s[0:1], v[12:13] op_sel_hi:[1,0,1]
	v_pk_add_f32 v[2:3], v[2:3], v[60:61]
	v_pk_fma_f32 v[48:49], v[46:47], s[0:1], v[48:49] op_sel_hi:[1,0,1]
	ds_write2_b64 v83, v[10:11], v[12:13] offset0:70 offset1:160
	v_pk_fma_f32 v[10:11], v[66:67], s[0:1], v[38:39] op_sel_hi:[1,0,1]
	ds_write2_b64 v25, v[42:43], v[48:49] offset0:132 offset1:222
	ds_write2_b64 v9, v[36:37], v[10:11] offset0:8 offset1:98
	;; [unrolled: 1-line block ×3, first 2 shown]
	v_pk_add_f32 v[2:3], v[68:69], v[26:27]
	v_pk_add_f32 v[10:11], v[72:73], v[60:61] neg_lo:[0,1] neg_hi:[0,1]
	v_pk_fma_f32 v[2:3], v[2:3], 0.5, v[14:15] op_sel_hi:[1,0,1] neg_lo:[1,0,0] neg_hi:[1,0,0]
	v_pk_mul_f32 v[12:13], v[10:11], s[2:3] op_sel_hi:[1,0]
	v_pk_add_f32 v[36:37], v[68:69], v[26:27] neg_lo:[0,1] neg_hi:[0,1]
	v_pk_add_f32 v[40:41], v[72:73], v[68:69] neg_lo:[0,1] neg_hi:[0,1]
	;; [unrolled: 1-line block ×3, first 2 shown]
	v_pk_mul_f32 v[38:39], v[36:37], s[4:5] op_sel_hi:[1,0]
	v_pk_add_f32 v[40:41], v[40:41], v[42:43]
	v_pk_add_f32 v[42:43], v[2:3], v[12:13] op_sel:[0,1] op_sel_hi:[1,0] neg_lo:[0,1] neg_hi:[0,1]
	v_pk_add_f32 v[2:3], v[2:3], v[12:13] op_sel:[0,1] op_sel_hi:[1,0]
	v_pk_add_f32 v[12:13], v[42:43], v[38:39] op_sel:[0,1] op_sel_hi:[1,0] neg_lo:[0,1] neg_hi:[0,1]
	v_pk_add_f32 v[42:43], v[72:73], v[60:61]
	v_pk_add_f32 v[26:27], v[26:27], v[60:61] neg_lo:[0,1] neg_hi:[0,1]
	v_pk_fma_f32 v[14:15], v[42:43], 0.5, v[14:15] op_sel_hi:[1,0,1] neg_lo:[1,0,0] neg_hi:[1,0,0]
	v_pk_add_f32 v[42:43], v[68:69], v[72:73] neg_lo:[0,1] neg_hi:[0,1]
	v_pk_mul_f32 v[36:37], v[36:37], s[2:3] op_sel_hi:[1,0]
	v_pk_add_f32 v[26:27], v[42:43], v[26:27]
	v_pk_mul_f32 v[10:11], v[10:11], s[4:5] op_sel_hi:[1,0]
	v_pk_add_f32 v[42:43], v[14:15], v[36:37] op_sel:[0,1] op_sel_hi:[1,0]
	v_pk_add_f32 v[14:15], v[14:15], v[36:37] op_sel:[0,1] op_sel_hi:[1,0] neg_lo:[0,1] neg_hi:[0,1]
	v_mov_b32_e32 v31, v21
	v_pk_add_f32 v[14:15], v[14:15], v[10:11] op_sel:[0,1] op_sel_hi:[1,0]
	v_pk_add_f32 v[10:11], v[42:43], v[10:11] op_sel:[0,1] op_sel_hi:[1,0] neg_lo:[0,1] neg_hi:[0,1]
	v_pk_add_f32 v[2:3], v[2:3], v[38:39] op_sel:[0,1] op_sel_hi:[1,0]
	v_mov_b32_e32 v37, v15
	v_mov_b32_e32 v15, v11
	;; [unrolled: 1-line block ×5, first 2 shown]
	v_pk_fma_f32 v[10:11], v[26:27], s[0:1], v[14:15] op_sel_hi:[1,0,1]
	v_mov_b32_e32 v3, v13
	v_pk_add_f32 v[12:13], v[34:35], v[28:29]
	v_pk_add_f32 v[14:15], v[56:57], v[30:31] neg_lo:[0,1] neg_hi:[0,1]
	v_pk_fma_f32 v[38:39], v[40:41], s[0:1], v[38:39] op_sel_hi:[1,0,1]
	v_pk_fma_f32 v[36:37], v[26:27], s[0:1], v[36:37] op_sel_hi:[1,0,1]
	;; [unrolled: 1-line block ×3, first 2 shown]
	v_pk_fma_f32 v[12:13], v[12:13], 0.5, v[16:17] op_sel_hi:[1,0,1] neg_lo:[1,0,0] neg_hi:[1,0,0]
	v_pk_mul_f32 v[26:27], v[14:15], s[2:3] op_sel_hi:[1,0]
	v_pk_add_f32 v[40:41], v[34:35], v[28:29] neg_lo:[0,1] neg_hi:[0,1]
	v_pk_add_f32 v[44:45], v[56:57], v[34:35] neg_lo:[0,1] neg_hi:[0,1]
	;; [unrolled: 1-line block ×3, first 2 shown]
	v_pk_mul_f32 v[42:43], v[40:41], s[4:5] op_sel_hi:[1,0]
	v_pk_add_f32 v[44:45], v[44:45], v[46:47]
	v_pk_add_f32 v[46:47], v[12:13], v[26:27] op_sel:[0,1] op_sel_hi:[1,0] neg_lo:[0,1] neg_hi:[0,1]
	v_pk_add_f32 v[12:13], v[12:13], v[26:27] op_sel:[0,1] op_sel_hi:[1,0]
	v_pk_add_f32 v[26:27], v[46:47], v[42:43] op_sel:[0,1] op_sel_hi:[1,0] neg_lo:[0,1] neg_hi:[0,1]
	v_pk_add_f32 v[12:13], v[12:13], v[42:43] op_sel:[0,1] op_sel_hi:[1,0]
	v_pk_add_f32 v[20:21], v[16:17], v[56:57]
	v_mov_b32_e32 v42, v26
	v_mov_b32_e32 v43, v13
	v_pk_add_f32 v[20:21], v[20:21], v[34:35]
	v_pk_fma_f32 v[42:43], v[44:45], s[0:1], v[42:43] op_sel_hi:[1,0,1]
	v_pk_add_f32 v[20:21], v[20:21], v[28:29]
	ds_write2_b64 v82, v[38:39], v[42:43] offset0:118 offset1:208
	v_pk_add_f32 v[38:39], v[56:57], v[30:31]
	v_pk_add_f32 v[20:21], v[20:21], v[30:31]
	v_pk_fma_f32 v[16:17], v[38:39], 0.5, v[16:17] op_sel_hi:[1,0,1] neg_lo:[1,0,0] neg_hi:[1,0,0]
	v_pk_add_f32 v[34:35], v[34:35], v[56:57] neg_lo:[0,1] neg_hi:[0,1]
	v_pk_add_f32 v[28:29], v[28:29], v[30:31] neg_lo:[0,1] neg_hi:[0,1]
	v_pk_mul_f32 v[30:31], v[40:41], s[2:3] op_sel_hi:[1,0]
	v_pk_add_f32 v[28:29], v[34:35], v[28:29]
	v_pk_mul_f32 v[14:15], v[14:15], s[4:5] op_sel_hi:[1,0]
	v_pk_add_f32 v[34:35], v[16:17], v[30:31] op_sel:[0,1] op_sel_hi:[1,0]
	v_pk_add_f32 v[16:17], v[16:17], v[30:31] op_sel:[0,1] op_sel_hi:[1,0] neg_lo:[0,1] neg_hi:[0,1]
	v_mov_b32_e32 v33, v19
	v_pk_add_f32 v[16:17], v[16:17], v[14:15] op_sel:[0,1] op_sel_hi:[1,0]
	v_pk_add_f32 v[14:15], v[34:35], v[14:15] op_sel:[0,1] op_sel_hi:[1,0] neg_lo:[0,1] neg_hi:[0,1]
	v_mov_b32_e32 v31, v17
	v_mov_b32_e32 v17, v15
	v_pk_add_f32 v[18:19], v[0:1], v[58:59]
	v_mov_b32_e32 v30, v14
	v_pk_fma_f32 v[14:15], v[28:29], s[0:1], v[16:17] op_sel_hi:[1,0,1]
	v_add_u32_e32 v13, 0x2c00, v218
	v_pk_add_f32 v[18:19], v[18:19], v[54:55]
	ds_write2_b64 v13, v[10:11], v[14:15] offset0:122 offset1:212
	v_mov_b32_e32 v13, v27
	v_pk_add_f32 v[18:19], v[18:19], v[22:23]
	v_pk_fma_f32 v[30:31], v[28:29], s[0:1], v[30:31] op_sel_hi:[1,0,1]
	v_pk_fma_f32 v[10:11], v[44:45], s[0:1], v[12:13] op_sel_hi:[1,0,1]
	v_pk_add_f32 v[18:19], v[18:19], v[32:33]
	ds_write2_b64 v81, v[36:37], v[30:31] offset0:56 offset1:146
	ds_write2_b64 v84, v[2:3], v[10:11] offset0:60 offset1:150
	;; [unrolled: 1-line block ×3, first 2 shown]
	v_pk_add_f32 v[2:3], v[54:55], v[22:23]
	v_pk_add_f32 v[10:11], v[58:59], v[32:33] neg_lo:[0,1] neg_hi:[0,1]
	v_pk_fma_f32 v[2:3], v[2:3], 0.5, v[0:1] op_sel_hi:[1,0,1] neg_lo:[1,0,0] neg_hi:[1,0,0]
	v_pk_mul_f32 v[12:13], v[10:11], s[2:3] op_sel_hi:[1,0]
	v_pk_add_f32 v[14:15], v[54:55], v[22:23] neg_lo:[0,1] neg_hi:[0,1]
	v_pk_add_f32 v[18:19], v[58:59], v[54:55] neg_lo:[0,1] neg_hi:[0,1]
	;; [unrolled: 1-line block ×3, first 2 shown]
	v_pk_mul_f32 v[16:17], v[14:15], s[4:5] op_sel_hi:[1,0]
	v_pk_add_f32 v[18:19], v[18:19], v[20:21]
	v_pk_add_f32 v[20:21], v[2:3], v[12:13] op_sel:[0,1] op_sel_hi:[1,0] neg_lo:[0,1] neg_hi:[0,1]
	v_pk_add_f32 v[2:3], v[2:3], v[12:13] op_sel:[0,1] op_sel_hi:[1,0]
	v_pk_add_f32 v[12:13], v[20:21], v[16:17] op_sel:[0,1] op_sel_hi:[1,0] neg_lo:[0,1] neg_hi:[0,1]
	v_pk_add_f32 v[2:3], v[2:3], v[16:17] op_sel:[0,1] op_sel_hi:[1,0]
	v_mov_b32_e32 v16, v12
	v_mov_b32_e32 v17, v3
	v_pk_fma_f32 v[16:17], v[18:19], s[0:1], v[16:17] op_sel_hi:[1,0,1]
	ds_write_b64 v218, v[16:17] offset:6480
	v_pk_add_f32 v[16:17], v[58:59], v[32:33]
	v_pk_add_f32 v[20:21], v[22:23], v[32:33] neg_lo:[0,1] neg_hi:[0,1]
	v_pk_fma_f32 v[0:1], v[16:17], 0.5, v[0:1] op_sel_hi:[1,0,1] neg_lo:[1,0,0] neg_hi:[1,0,0]
	v_pk_add_f32 v[16:17], v[54:55], v[58:59] neg_lo:[0,1] neg_hi:[0,1]
	v_pk_mul_f32 v[14:15], v[14:15], s[2:3] op_sel_hi:[1,0]
	v_pk_add_f32 v[16:17], v[16:17], v[20:21]
	v_pk_mul_f32 v[10:11], v[10:11], s[4:5] op_sel_hi:[1,0]
	v_pk_add_f32 v[20:21], v[0:1], v[14:15] op_sel:[0,1] op_sel_hi:[1,0]
	v_pk_add_f32 v[0:1], v[0:1], v[14:15] op_sel:[0,1] op_sel_hi:[1,0] neg_lo:[0,1] neg_hi:[0,1]
	v_mov_b32_e32 v3, v13
	v_pk_add_f32 v[0:1], v[0:1], v[10:11] op_sel:[0,1] op_sel_hi:[1,0]
	v_pk_add_f32 v[10:11], v[20:21], v[10:11] op_sel:[0,1] op_sel_hi:[1,0] neg_lo:[0,1] neg_hi:[0,1]
	v_mov_b32_e32 v15, v1
	v_mov_b32_e32 v1, v11
	;; [unrolled: 1-line block ×3, first 2 shown]
	v_pk_fma_f32 v[0:1], v[16:17], s[0:1], v[0:1] op_sel_hi:[1,0,1]
	v_pk_fma_f32 v[14:15], v[16:17], s[0:1], v[14:15] op_sel_hi:[1,0,1]
	ds_write_b64 v218, v[0:1] offset:13680
	v_pk_fma_f32 v[0:1], v[18:19], s[0:1], v[2:3] op_sel_hi:[1,0,1]
	ds_write_b64 v218, v[14:15] offset:10080
	ds_write_b64 v218, v[0:1] offset:17280
	s_waitcnt lgkmcnt(0)
	s_barrier
	ds_read2_b64 v[0:3], v218 offset1:90
	v_accvgpr_read_b32 v12, a14
	v_accvgpr_read_b32 v13, a15
	v_mov_b32_e32 v7, v8
	s_mov_b32 s0, 0x5a912e32
	s_waitcnt lgkmcnt(0)
	v_mul_f32_e32 v8, v13, v1
	v_fmac_f32_e32 v8, v12, v0
	v_mul_f32_e32 v0, v13, v0
	v_cvt_f64_f32_e32 v[10:11], v8
	s_mov_b32 s1, 0x3f3d208a
	v_fma_f32 v0, v12, v1, -v0
	v_mul_f64 v[10:11], v[10:11], s[0:1]
	v_cvt_f64_f32_e32 v[0:1], v0
	v_cvt_f32_f64_e32 v14, v[10:11]
	v_mul_f64 v[0:1], v[0:1], s[0:1]
	v_accvgpr_read_b32 v10, a4
	v_cvt_f32_f64_e32 v15, v[0:1]
	v_mad_u64_u32 v[0:1], s[2:3], s8, v10, 0
	v_mov_b32_e32 v8, v1
	v_mad_u64_u32 v[16:17], s[2:3], s9, v10, v[8:9]
	ds_read2_b64 v[10:13], v80 offset0:97 offset1:187
	v_mov_b32_e32 v4, s12
	v_mov_b32_e32 v5, s13
	v_lshl_add_u64 v[4:5], v[6:7], 3, v[4:5]
	v_accvgpr_read_b32 v6, a10
	v_mov_b32_e32 v1, v16
	v_accvgpr_read_b32 v7, a11
	v_lshl_add_u64 v[0:1], v[0:1], 3, v[4:5]
	s_waitcnt lgkmcnt(0)
	v_mul_f32_e32 v4, v7, v11
	v_fmac_f32_e32 v4, v6, v10
	v_cvt_f64_f32_e32 v[4:5], v4
	v_mul_f64 v[4:5], v[4:5], s[0:1]
	global_store_dwordx2 v[0:1], v[14:15], off
	v_cvt_f32_f64_e32 v14, v[4:5]
	v_mul_f32_e32 v4, v7, v10
	v_fma_f32 v4, v6, v11, -v4
	v_cvt_f64_f32_e32 v[4:5], v4
	v_mul_f64 v[4:5], v[4:5], s[0:1]
	v_cvt_f32_f64_e32 v15, v[4:5]
	s_mul_i32 s2, s9, 0xe1
	s_mul_hi_u32 s3, s8, 0xe1
	ds_read2_b64 v[4:7], v24 offset0:66 offset1:156
	s_add_i32 s3, s3, s2
	s_mul_i32 s2, s8, 0xe1
	s_lshl_b64 s[2:3], s[2:3], 3
	v_lshl_add_u64 v[0:1], v[0:1], 0, s[2:3]
	global_store_dwordx2 v[0:1], v[14:15], off
	v_accvgpr_read_b32 v15, a7
	v_accvgpr_read_b32 v14, a6
	s_waitcnt lgkmcnt(0)
	v_mul_f32_e32 v8, v15, v5
	v_fmac_f32_e32 v8, v14, v4
	v_mul_f32_e32 v4, v15, v4
	v_fma_f32 v4, v14, v5, -v4
	v_cvt_f64_f32_e32 v[10:11], v8
	v_cvt_f64_f32_e32 v[4:5], v4
	ds_read2_b64 v[14:17], v82 offset0:163 offset1:253
	v_mul_f64 v[10:11], v[10:11], s[0:1]
	v_mul_f64 v[4:5], v[4:5], s[0:1]
	v_cvt_f32_f64_e32 v10, v[10:11]
	v_cvt_f32_f64_e32 v11, v[4:5]
	v_lshl_add_u64 v[0:1], v[0:1], 0, s[2:3]
	global_store_dwordx2 v[0:1], v[10:11], off
	v_accvgpr_read_b32 v10, a26
	v_accvgpr_read_b32 v11, a27
	s_waitcnt lgkmcnt(0)
	v_mul_f32_e32 v4, v11, v15
	v_fmac_f32_e32 v4, v10, v14
	v_cvt_f64_f32_e32 v[4:5], v4
	v_mul_f64 v[4:5], v[4:5], s[0:1]
	v_cvt_f32_f64_e32 v4, v[4:5]
	v_mul_f32_e32 v5, v11, v14
	v_fma_f32 v5, v10, v15, -v5
	ds_read2_b64 v[18:21], v25 offset0:132 offset1:222
	v_cvt_f64_f32_e32 v[10:11], v5
	v_mul_f64 v[10:11], v[10:11], s[0:1]
	v_cvt_f32_f64_e32 v5, v[10:11]
	v_accvgpr_read_b32 v10, a42
	v_lshl_add_u64 v[0:1], v[0:1], 0, s[2:3]
	v_accvgpr_read_b32 v11, a43
	global_store_dwordx2 v[0:1], v[4:5], off
	s_waitcnt lgkmcnt(0)
	v_mul_f32_e32 v4, v11, v19
	v_fmac_f32_e32 v4, v10, v18
	v_cvt_f64_f32_e32 v[4:5], v4
	v_mul_f64 v[4:5], v[4:5], s[0:1]
	v_cvt_f32_f64_e32 v4, v[4:5]
	v_mul_f32_e32 v5, v11, v18
	v_fma_f32 v5, v10, v19, -v5
	ds_read2_b64 v[22:25], v81 offset0:101 offset1:191
	v_cvt_f64_f32_e32 v[10:11], v5
	v_mul_f64 v[10:11], v[10:11], s[0:1]
	v_cvt_f32_f64_e32 v5, v[10:11]
	v_accvgpr_read_b32 v10, a40
	v_lshl_add_u64 v[0:1], v[0:1], 0, s[2:3]
	v_accvgpr_read_b32 v11, a41
	global_store_dwordx2 v[0:1], v[4:5], off
	;; [unrolled: 16-line block ×6, first 2 shown]
	s_waitcnt lgkmcnt(0)
	v_mul_f32_e32 v4, v9, v35
	v_fmac_f32_e32 v4, v8, v34
	v_cvt_f64_f32_e32 v[4:5], v4
	v_mul_f64 v[4:5], v[4:5], s[0:1]
	v_cvt_f32_f64_e32 v4, v[4:5]
	v_mul_f32_e32 v5, v9, v34
	v_fma_f32 v5, v8, v35, -v5
	v_cvt_f64_f32_e32 v[8:9], v5
	v_mul_f64 v[8:9], v[8:9], s[0:1]
	v_cvt_f32_f64_e32 v5, v[8:9]
	v_accvgpr_read_b32 v8, a28
	v_lshl_add_u64 v[0:1], v[0:1], 0, s[2:3]
	v_accvgpr_read_b32 v9, a29
	global_store_dwordx2 v[0:1], v[4:5], off
	v_mul_f32_e32 v4, v9, v3
	v_fmac_f32_e32 v4, v8, v2
	v_mul_f32_e32 v2, v9, v2
	v_fma_f32 v2, v8, v3, -v2
	s_mul_hi_u32 s5, s8, 0xfffff871
	v_cvt_f64_f32_e32 v[4:5], v4
	v_cvt_f64_f32_e32 v[2:3], v2
	s_mul_i32 s4, s9, 0xfffff871
	s_sub_i32 s5, s5, s8
	v_mul_f64 v[4:5], v[4:5], s[0:1]
	v_mul_f64 v[2:3], v[2:3], s[0:1]
	s_add_i32 s5, s5, s4
	s_mul_i32 s4, s8, 0xfffff871
	v_cvt_f32_f64_e32 v4, v[4:5]
	v_cvt_f32_f64_e32 v5, v[2:3]
	v_lshl_add_u64 v[0:1], s[4:5], 3, v[0:1]
	global_store_dwordx2 v[0:1], v[4:5], off
	v_accvgpr_read_b32 v4, a18
	v_accvgpr_read_b32 v5, a19
	v_mul_f32_e32 v2, v5, v13
	v_fmac_f32_e32 v2, v4, v12
	v_cvt_f64_f32_e32 v[2:3], v2
	v_mul_f64 v[2:3], v[2:3], s[0:1]
	v_cvt_f32_f64_e32 v2, v[2:3]
	v_mul_f32_e32 v3, v5, v12
	v_fma_f32 v3, v4, v13, -v3
	v_cvt_f64_f32_e32 v[4:5], v3
	v_mul_f64 v[4:5], v[4:5], s[0:1]
	v_cvt_f32_f64_e32 v3, v[4:5]
	v_accvgpr_read_b32 v4, a30
	v_lshl_add_u64 v[0:1], v[0:1], 0, s[2:3]
	v_accvgpr_read_b32 v5, a31
	global_store_dwordx2 v[0:1], v[2:3], off
	v_mul_f32_e32 v2, v5, v7
	v_fmac_f32_e32 v2, v4, v6
	v_cvt_f64_f32_e32 v[2:3], v2
	v_mul_f64 v[2:3], v[2:3], s[0:1]
	v_cvt_f32_f64_e32 v2, v[2:3]
	v_mul_f32_e32 v3, v5, v6
	v_fma_f32 v3, v4, v7, -v3
	v_cvt_f64_f32_e32 v[4:5], v3
	v_mul_f64 v[4:5], v[4:5], s[0:1]
	v_cvt_f32_f64_e32 v3, v[4:5]
	v_accvgpr_read_b32 v4, a20
	v_lshl_add_u64 v[0:1], v[0:1], 0, s[2:3]
	v_accvgpr_read_b32 v5, a21
	global_store_dwordx2 v[0:1], v[2:3], off
	v_mul_f32_e32 v2, v5, v17
	v_fmac_f32_e32 v2, v4, v16
	v_cvt_f64_f32_e32 v[2:3], v2
	v_mul_f64 v[2:3], v[2:3], s[0:1]
	v_cvt_f32_f64_e32 v2, v[2:3]
	v_mul_f32_e32 v3, v5, v16
	v_fma_f32 v3, v4, v17, -v3
	v_cvt_f64_f32_e32 v[4:5], v3
	v_mul_f64 v[4:5], v[4:5], s[0:1]
	v_cvt_f32_f64_e32 v3, v[4:5]
	v_accvgpr_read_b32 v4, a24
	v_lshl_add_u64 v[0:1], v[0:1], 0, s[2:3]
	v_accvgpr_read_b32 v5, a25
	global_store_dwordx2 v[0:1], v[2:3], off
	v_mul_f32_e32 v2, v5, v21
	v_fmac_f32_e32 v2, v4, v20
	v_cvt_f64_f32_e32 v[2:3], v2
	v_mul_f64 v[2:3], v[2:3], s[0:1]
	v_cvt_f32_f64_e32 v2, v[2:3]
	v_mul_f32_e32 v3, v5, v20
	v_fma_f32 v3, v4, v21, -v3
	v_cvt_f64_f32_e32 v[4:5], v3
	v_mul_f64 v[4:5], v[4:5], s[0:1]
	v_cvt_f32_f64_e32 v3, v[4:5]
	v_accvgpr_read_b32 v4, a22
	v_lshl_add_u64 v[0:1], v[0:1], 0, s[2:3]
	v_accvgpr_read_b32 v5, a23
	global_store_dwordx2 v[0:1], v[2:3], off
	v_mul_f32_e32 v2, v5, v25
	v_fmac_f32_e32 v2, v4, v24
	v_cvt_f64_f32_e32 v[2:3], v2
	v_mul_f64 v[2:3], v[2:3], s[0:1]
	v_cvt_f32_f64_e32 v2, v[2:3]
	v_mul_f32_e32 v3, v5, v24
	v_fma_f32 v3, v4, v25, -v3
	v_cvt_f64_f32_e32 v[4:5], v3
	v_mul_f64 v[4:5], v[4:5], s[0:1]
	v_cvt_f32_f64_e32 v3, v[4:5]
	v_accvgpr_read_b32 v4, a16
	v_lshl_add_u64 v[0:1], v[0:1], 0, s[2:3]
	v_accvgpr_read_b32 v5, a17
	global_store_dwordx2 v[0:1], v[2:3], off
	v_mul_f32_e32 v2, v5, v29
	v_fmac_f32_e32 v2, v4, v28
	v_cvt_f64_f32_e32 v[2:3], v2
	v_mul_f64 v[2:3], v[2:3], s[0:1]
	v_cvt_f32_f64_e32 v2, v[2:3]
	v_mul_f32_e32 v3, v5, v28
	v_fma_f32 v3, v4, v29, -v3
	v_cvt_f64_f32_e32 v[4:5], v3
	v_mul_f64 v[4:5], v[4:5], s[0:1]
	v_cvt_f32_f64_e32 v3, v[4:5]
	v_accvgpr_read_b32 v4, a12
	v_lshl_add_u64 v[0:1], v[0:1], 0, s[2:3]
	v_accvgpr_read_b32 v5, a13
	global_store_dwordx2 v[0:1], v[2:3], off
	v_mul_f32_e32 v2, v5, v33
	v_fmac_f32_e32 v2, v4, v32
	v_cvt_f64_f32_e32 v[2:3], v2
	v_mul_f64 v[2:3], v[2:3], s[0:1]
	v_cvt_f32_f64_e32 v2, v[2:3]
	v_mul_f32_e32 v3, v5, v32
	v_fma_f32 v3, v4, v33, -v3
	v_cvt_f64_f32_e32 v[4:5], v3
	v_mul_f64 v[4:5], v[4:5], s[0:1]
	v_cvt_f32_f64_e32 v3, v[4:5]
	v_accvgpr_read_b32 v4, a8
	v_lshl_add_u64 v[0:1], v[0:1], 0, s[2:3]
	v_accvgpr_read_b32 v5, a9
	global_store_dwordx2 v[0:1], v[2:3], off
	v_mul_f32_e32 v2, v5, v11
	v_fmac_f32_e32 v2, v4, v10
	v_cvt_f64_f32_e32 v[2:3], v2
	v_mul_f64 v[2:3], v[2:3], s[0:1]
	v_cvt_f32_f64_e32 v2, v[2:3]
	v_mul_f32_e32 v3, v5, v10
	v_fma_f32 v3, v4, v11, -v3
	v_cvt_f64_f32_e32 v[4:5], v3
	v_mul_f64 v[4:5], v[4:5], s[0:1]
	v_cvt_f32_f64_e32 v3, v[4:5]
	v_lshl_add_u64 v[0:1], v[0:1], 0, s[2:3]
	v_accvgpr_read_b32 v5, a3
	global_store_dwordx2 v[0:1], v[2:3], off
	v_accvgpr_read_b32 v4, a2
	v_mul_f32_e32 v2, v5, v37
	v_fmac_f32_e32 v2, v4, v36
	v_cvt_f64_f32_e32 v[2:3], v2
	v_mul_f64 v[2:3], v[2:3], s[0:1]
	v_cvt_f32_f64_e32 v2, v[2:3]
	v_mul_f32_e32 v3, v5, v36
	v_fma_f32 v3, v4, v37, -v3
	v_cvt_f64_f32_e32 v[4:5], v3
	v_mul_f64 v[4:5], v[4:5], s[0:1]
	s_movk_i32 s12, 0x1000
	s_movk_i32 s11, 0x2000
	;; [unrolled: 1-line block ×3, first 2 shown]
	v_cvt_f32_f64_e32 v3, v[4:5]
	v_lshl_add_u64 v[0:1], v[0:1], 0, s[2:3]
	global_store_dwordx2 v[0:1], v[2:3], off
	s_and_b64 exec, exec, s[6:7]
	s_cbranch_execz .LBB0_31
; %bb.30:
	v_accvgpr_read_b32 v13, a1
	v_accvgpr_read_b32 v12, a0
	global_load_dwordx2 v[6:7], v[12:13], off offset:1440
	v_add_u32_e32 v2, 0x500, v218
	ds_read2_b64 v[2:5], v2 offset0:20 offset1:245
	v_lshl_add_u64 v[0:1], s[4:5], 3, v[0:1]
	s_movk_i32 s4, 0x4000
	s_waitcnt vmcnt(0) lgkmcnt(0)
	v_mul_f32_e32 v8, v3, v7
	v_mul_f32_e32 v7, v2, v7
	v_fmac_f32_e32 v8, v2, v6
	v_fma_f32 v6, v6, v3, -v7
	v_cvt_f64_f32_e32 v[2:3], v8
	v_cvt_f64_f32_e32 v[6:7], v6
	v_mul_f64 v[2:3], v[2:3], s[0:1]
	v_mul_f64 v[6:7], v[6:7], s[0:1]
	v_cvt_f32_f64_e32 v2, v[2:3]
	v_cvt_f32_f64_e32 v3, v[6:7]
	global_store_dwordx2 v[0:1], v[2:3], off
	global_load_dwordx2 v[2:3], v[12:13], off offset:3240
	v_lshl_add_u64 v[8:9], v[0:1], 0, s[2:3]
	v_add_co_u32_e32 v6, vcc, s12, v12
	s_waitcnt vmcnt(0)
	v_mul_f32_e32 v0, v5, v3
	v_mul_f32_e32 v1, v4, v3
	v_fmac_f32_e32 v0, v4, v2
	v_fma_f32 v2, v2, v5, -v1
	v_cvt_f64_f32_e32 v[0:1], v0
	v_cvt_f64_f32_e32 v[2:3], v2
	v_mul_f64 v[0:1], v[0:1], s[0:1]
	v_mul_f64 v[2:3], v[2:3], s[0:1]
	v_cvt_f32_f64_e32 v0, v[0:1]
	v_cvt_f32_f64_e32 v1, v[2:3]
	v_addc_co_u32_e32 v7, vcc, 0, v13, vcc
	global_store_dwordx2 v[8:9], v[0:1], off
	global_load_dwordx2 v[4:5], v[6:7], off offset:944
	v_add_u32_e32 v0, 0x1300, v218
	ds_read2_b64 v[0:3], v0 offset0:22 offset1:247
	v_lshl_add_u64 v[8:9], v[8:9], 0, s[2:3]
	s_waitcnt vmcnt(0) lgkmcnt(0)
	v_mul_f32_e32 v10, v1, v5
	v_mul_f32_e32 v5, v0, v5
	v_fmac_f32_e32 v10, v0, v4
	v_fma_f32 v4, v4, v1, -v5
	v_cvt_f64_f32_e32 v[0:1], v10
	v_cvt_f64_f32_e32 v[4:5], v4
	v_mul_f64 v[0:1], v[0:1], s[0:1]
	v_mul_f64 v[4:5], v[4:5], s[0:1]
	v_cvt_f32_f64_e32 v0, v[0:1]
	v_cvt_f32_f64_e32 v1, v[4:5]
	global_store_dwordx2 v[8:9], v[0:1], off
	global_load_dwordx2 v[0:1], v[6:7], off offset:2744
	v_lshl_add_u64 v[6:7], v[8:9], 0, s[2:3]
	v_add_co_u32_e32 v4, vcc, s11, v12
	s_waitcnt vmcnt(0)
	v_mul_f32_e32 v8, v3, v1
	v_mul_f32_e32 v1, v2, v1
	v_fmac_f32_e32 v8, v2, v0
	v_fma_f32 v2, v0, v3, -v1
	v_cvt_f64_f32_e32 v[0:1], v8
	v_cvt_f64_f32_e32 v[2:3], v2
	v_mul_f64 v[0:1], v[0:1], s[0:1]
	v_mul_f64 v[2:3], v[2:3], s[0:1]
	v_cvt_f32_f64_e32 v0, v[0:1]
	v_cvt_f32_f64_e32 v1, v[2:3]
	v_addc_co_u32_e32 v5, vcc, 0, v13, vcc
	global_store_dwordx2 v[6:7], v[0:1], off
	global_load_dwordx2 v[8:9], v[4:5], off offset:448
	v_add_u32_e32 v0, 0x2100, v218
	ds_read2_b64 v[0:3], v0 offset0:24 offset1:249
	v_lshl_add_u64 v[6:7], v[6:7], 0, s[2:3]
	s_waitcnt vmcnt(0) lgkmcnt(0)
	v_mul_f32_e32 v10, v1, v9
	v_mul_f32_e32 v9, v0, v9
	v_fmac_f32_e32 v10, v0, v8
	v_fma_f32 v8, v8, v1, -v9
	v_cvt_f64_f32_e32 v[0:1], v10
	v_cvt_f64_f32_e32 v[8:9], v8
	v_mul_f64 v[0:1], v[0:1], s[0:1]
	v_mul_f64 v[8:9], v[8:9], s[0:1]
	v_cvt_f32_f64_e32 v0, v[0:1]
	v_cvt_f32_f64_e32 v1, v[8:9]
	global_store_dwordx2 v[6:7], v[0:1], off
	global_load_dwordx2 v[0:1], v[4:5], off offset:2248
	v_lshl_add_u64 v[6:7], v[6:7], 0, s[2:3]
	s_waitcnt vmcnt(0)
	v_mul_f32_e32 v8, v3, v1
	v_mul_f32_e32 v1, v2, v1
	v_fmac_f32_e32 v8, v2, v0
	v_fma_f32 v2, v0, v3, -v1
	v_cvt_f64_f32_e32 v[0:1], v8
	v_cvt_f64_f32_e32 v[2:3], v2
	v_mul_f64 v[0:1], v[0:1], s[0:1]
	v_mul_f64 v[2:3], v[2:3], s[0:1]
	v_cvt_f32_f64_e32 v0, v[0:1]
	v_cvt_f32_f64_e32 v1, v[2:3]
	global_store_dwordx2 v[6:7], v[0:1], off
	global_load_dwordx2 v[4:5], v[4:5], off offset:4048
	v_add_u32_e32 v0, 0x2f00, v218
	ds_read2_b64 v[0:3], v0 offset0:26 offset1:251
	v_add_co_u32_e32 v8, vcc, s10, v12
	v_lshl_add_u64 v[6:7], v[6:7], 0, s[2:3]
	s_nop 0
	v_addc_co_u32_e32 v9, vcc, 0, v13, vcc
	s_waitcnt vmcnt(0) lgkmcnt(0)
	v_mul_f32_e32 v10, v1, v5
	v_mul_f32_e32 v5, v0, v5
	v_fmac_f32_e32 v10, v0, v4
	v_fma_f32 v4, v4, v1, -v5
	v_cvt_f64_f32_e32 v[0:1], v10
	v_cvt_f64_f32_e32 v[4:5], v4
	v_mul_f64 v[0:1], v[0:1], s[0:1]
	v_mul_f64 v[4:5], v[4:5], s[0:1]
	v_cvt_f32_f64_e32 v0, v[0:1]
	v_cvt_f32_f64_e32 v1, v[4:5]
	global_store_dwordx2 v[6:7], v[0:1], off
	global_load_dwordx2 v[0:1], v[8:9], off offset:1752
	v_lshl_add_u64 v[4:5], v[6:7], 0, s[2:3]
	s_waitcnt vmcnt(0)
	v_mul_f32_e32 v6, v3, v1
	v_mul_f32_e32 v1, v2, v1
	v_fmac_f32_e32 v6, v2, v0
	v_fma_f32 v2, v0, v3, -v1
	v_cvt_f64_f32_e32 v[0:1], v6
	v_cvt_f64_f32_e32 v[2:3], v2
	v_mul_f64 v[0:1], v[0:1], s[0:1]
	v_mul_f64 v[2:3], v[2:3], s[0:1]
	v_cvt_f32_f64_e32 v0, v[0:1]
	v_cvt_f32_f64_e32 v1, v[2:3]
	global_store_dwordx2 v[4:5], v[0:1], off
	global_load_dwordx2 v[6:7], v[8:9], off offset:3552
	v_add_u32_e32 v0, 0x3d00, v218
	ds_read2_b64 v[0:3], v0 offset0:28 offset1:253
	v_add_co_u32_e32 v8, vcc, s4, v12
	v_lshl_add_u64 v[4:5], v[4:5], 0, s[2:3]
	s_nop 0
	v_addc_co_u32_e32 v9, vcc, 0, v13, vcc
	s_waitcnt vmcnt(0) lgkmcnt(0)
	v_mul_f32_e32 v10, v1, v7
	v_mul_f32_e32 v7, v0, v7
	v_fmac_f32_e32 v10, v0, v6
	v_fma_f32 v6, v6, v1, -v7
	v_cvt_f64_f32_e32 v[0:1], v10
	v_cvt_f64_f32_e32 v[6:7], v6
	v_mul_f64 v[0:1], v[0:1], s[0:1]
	v_mul_f64 v[6:7], v[6:7], s[0:1]
	v_cvt_f32_f64_e32 v0, v[0:1]
	v_cvt_f32_f64_e32 v1, v[6:7]
	global_store_dwordx2 v[4:5], v[0:1], off
	global_load_dwordx2 v[0:1], v[8:9], off offset:1256
	s_waitcnt vmcnt(0)
	v_mul_f32_e32 v6, v3, v1
	v_mul_f32_e32 v1, v2, v1
	v_fmac_f32_e32 v6, v2, v0
	v_fma_f32 v2, v0, v3, -v1
	v_cvt_f64_f32_e32 v[0:1], v6
	v_cvt_f64_f32_e32 v[2:3], v2
	v_mul_f64 v[0:1], v[0:1], s[0:1]
	v_mul_f64 v[2:3], v[2:3], s[0:1]
	v_cvt_f32_f64_e32 v0, v[0:1]
	v_cvt_f32_f64_e32 v1, v[2:3]
	v_lshl_add_u64 v[2:3], v[4:5], 0, s[2:3]
	global_store_dwordx2 v[2:3], v[0:1], off
.LBB0_31:
	s_endpgm
	.section	.rodata,"a",@progbits
	.p2align	6, 0x0
	.amdhsa_kernel bluestein_single_back_len2250_dim1_sp_op_CI_CI
		.amdhsa_group_segment_fixed_size 18000
		.amdhsa_private_segment_fixed_size 0
		.amdhsa_kernarg_size 104
		.amdhsa_user_sgpr_count 2
		.amdhsa_user_sgpr_dispatch_ptr 0
		.amdhsa_user_sgpr_queue_ptr 0
		.amdhsa_user_sgpr_kernarg_segment_ptr 1
		.amdhsa_user_sgpr_dispatch_id 0
		.amdhsa_user_sgpr_kernarg_preload_length 0
		.amdhsa_user_sgpr_kernarg_preload_offset 0
		.amdhsa_user_sgpr_private_segment_size 0
		.amdhsa_uses_dynamic_stack 0
		.amdhsa_enable_private_segment 0
		.amdhsa_system_sgpr_workgroup_id_x 1
		.amdhsa_system_sgpr_workgroup_id_y 0
		.amdhsa_system_sgpr_workgroup_id_z 0
		.amdhsa_system_sgpr_workgroup_info 0
		.amdhsa_system_vgpr_workitem_id 0
		.amdhsa_next_free_vgpr 359
		.amdhsa_next_free_sgpr 30
		.amdhsa_accum_offset 256
		.amdhsa_reserve_vcc 1
		.amdhsa_float_round_mode_32 0
		.amdhsa_float_round_mode_16_64 0
		.amdhsa_float_denorm_mode_32 3
		.amdhsa_float_denorm_mode_16_64 3
		.amdhsa_dx10_clamp 1
		.amdhsa_ieee_mode 1
		.amdhsa_fp16_overflow 0
		.amdhsa_tg_split 0
		.amdhsa_exception_fp_ieee_invalid_op 0
		.amdhsa_exception_fp_denorm_src 0
		.amdhsa_exception_fp_ieee_div_zero 0
		.amdhsa_exception_fp_ieee_overflow 0
		.amdhsa_exception_fp_ieee_underflow 0
		.amdhsa_exception_fp_ieee_inexact 0
		.amdhsa_exception_int_div_zero 0
	.end_amdhsa_kernel
	.text
.Lfunc_end0:
	.size	bluestein_single_back_len2250_dim1_sp_op_CI_CI, .Lfunc_end0-bluestein_single_back_len2250_dim1_sp_op_CI_CI
                                        ; -- End function
	.section	.AMDGPU.csdata,"",@progbits
; Kernel info:
; codeLenInByte = 32080
; NumSgprs: 36
; NumVgprs: 256
; NumAgprs: 103
; TotalNumVgprs: 359
; ScratchSize: 0
; MemoryBound: 0
; FloatMode: 240
; IeeeMode: 1
; LDSByteSize: 18000 bytes/workgroup (compile time only)
; SGPRBlocks: 4
; VGPRBlocks: 44
; NumSGPRsForWavesPerEU: 36
; NumVGPRsForWavesPerEU: 359
; AccumOffset: 256
; Occupancy: 1
; WaveLimiterHint : 1
; COMPUTE_PGM_RSRC2:SCRATCH_EN: 0
; COMPUTE_PGM_RSRC2:USER_SGPR: 2
; COMPUTE_PGM_RSRC2:TRAP_HANDLER: 0
; COMPUTE_PGM_RSRC2:TGID_X_EN: 1
; COMPUTE_PGM_RSRC2:TGID_Y_EN: 0
; COMPUTE_PGM_RSRC2:TGID_Z_EN: 0
; COMPUTE_PGM_RSRC2:TIDIG_COMP_CNT: 0
; COMPUTE_PGM_RSRC3_GFX90A:ACCUM_OFFSET: 63
; COMPUTE_PGM_RSRC3_GFX90A:TG_SPLIT: 0
	.text
	.p2alignl 6, 3212836864
	.fill 256, 4, 3212836864
	.type	__hip_cuid_da8fae154ae7473e,@object ; @__hip_cuid_da8fae154ae7473e
	.section	.bss,"aw",@nobits
	.globl	__hip_cuid_da8fae154ae7473e
__hip_cuid_da8fae154ae7473e:
	.byte	0                               ; 0x0
	.size	__hip_cuid_da8fae154ae7473e, 1

	.ident	"AMD clang version 19.0.0git (https://github.com/RadeonOpenCompute/llvm-project roc-6.4.0 25133 c7fe45cf4b819c5991fe208aaa96edf142730f1d)"
	.section	".note.GNU-stack","",@progbits
	.addrsig
	.addrsig_sym __hip_cuid_da8fae154ae7473e
	.amdgpu_metadata
---
amdhsa.kernels:
  - .agpr_count:     103
    .args:
      - .actual_access:  read_only
        .address_space:  global
        .offset:         0
        .size:           8
        .value_kind:     global_buffer
      - .actual_access:  read_only
        .address_space:  global
        .offset:         8
        .size:           8
        .value_kind:     global_buffer
      - .actual_access:  read_only
        .address_space:  global
        .offset:         16
        .size:           8
        .value_kind:     global_buffer
      - .actual_access:  read_only
        .address_space:  global
        .offset:         24
        .size:           8
        .value_kind:     global_buffer
      - .actual_access:  read_only
        .address_space:  global
        .offset:         32
        .size:           8
        .value_kind:     global_buffer
      - .offset:         40
        .size:           8
        .value_kind:     by_value
      - .address_space:  global
        .offset:         48
        .size:           8
        .value_kind:     global_buffer
      - .address_space:  global
        .offset:         56
        .size:           8
        .value_kind:     global_buffer
      - .address_space:  global
        .offset:         64
        .size:           8
        .value_kind:     global_buffer
      - .address_space:  global
        .offset:         72
        .size:           8
        .value_kind:     global_buffer
      - .offset:         80
        .size:           4
        .value_kind:     by_value
      - .address_space:  global
        .offset:         88
        .size:           8
        .value_kind:     global_buffer
      - .address_space:  global
        .offset:         96
        .size:           8
        .value_kind:     global_buffer
    .group_segment_fixed_size: 18000
    .kernarg_segment_align: 8
    .kernarg_segment_size: 104
    .language:       OpenCL C
    .language_version:
      - 2
      - 0
    .max_flat_workgroup_size: 90
    .name:           bluestein_single_back_len2250_dim1_sp_op_CI_CI
    .private_segment_fixed_size: 0
    .sgpr_count:     36
    .sgpr_spill_count: 0
    .symbol:         bluestein_single_back_len2250_dim1_sp_op_CI_CI.kd
    .uniform_work_group_size: 1
    .uses_dynamic_stack: false
    .vgpr_count:     359
    .vgpr_spill_count: 0
    .wavefront_size: 64
amdhsa.target:   amdgcn-amd-amdhsa--gfx950
amdhsa.version:
  - 1
  - 2
...

	.end_amdgpu_metadata
